;; amdgpu-corpus repo=ROCm/rocFFT kind=compiled arch=gfx1201 opt=O3
	.text
	.amdgcn_target "amdgcn-amd-amdhsa--gfx1201"
	.amdhsa_code_object_version 6
	.protected	bluestein_single_fwd_len84_dim1_half_op_CI_CI ; -- Begin function bluestein_single_fwd_len84_dim1_half_op_CI_CI
	.globl	bluestein_single_fwd_len84_dim1_half_op_CI_CI
	.p2align	8
	.type	bluestein_single_fwd_len84_dim1_half_op_CI_CI,@function
bluestein_single_fwd_len84_dim1_half_op_CI_CI: ; @bluestein_single_fwd_len84_dim1_half_op_CI_CI
; %bb.0:
	s_load_b128 s[16:19], s[0:1], 0x28
	v_mul_u32_u24_e32 v1, 0x1556, v0
	s_mov_b32 s2, exec_lo
	s_delay_alu instid0(VALU_DEP_1) | instskip(NEXT) | instid1(VALU_DEP_1)
	v_lshrrev_b32_e32 v1, 16, v1
	v_mad_co_u64_u32 v[8:9], null, ttmp9, 10, v[1:2]
	v_mov_b32_e32 v9, 0
                                        ; kill: def $vgpr2 killed $sgpr0 killed $exec
	s_wait_kmcnt 0x0
	s_delay_alu instid0(VALU_DEP_1)
	v_cmpx_gt_u64_e64 s[16:17], v[8:9]
	s_cbranch_execz .LBB0_18
; %bb.1:
	s_clause 0x1
	s_load_b128 s[4:7], s[0:1], 0x18
	s_load_b128 s[8:11], s[0:1], 0x0
	v_mul_lo_u16 v1, v1, 12
	s_delay_alu instid0(VALU_DEP_1) | instskip(NEXT) | instid1(VALU_DEP_1)
	v_sub_nc_u16 v15, v0, v1
	v_and_b32_e32 v33, 0xffff, v15
	s_delay_alu instid0(VALU_DEP_1)
	v_or_b32_e32 v23, 48, v33
	v_lshlrev_b32_e32 v11, 2, v33
	s_wait_kmcnt 0x0
	s_load_b128 s[12:15], s[4:5], 0x0
	s_wait_kmcnt 0x0
	v_mad_co_u64_u32 v[0:1], null, s14, v8, 0
	v_mad_co_u64_u32 v[2:3], null, s12, v33, 0
	s_mul_u64 s[2:3], s[12:13], 48
	s_delay_alu instid0(VALU_DEP_1) | instskip(NEXT) | instid1(VALU_DEP_1)
	v_mad_co_u64_u32 v[4:5], null, s15, v8, v[1:2]
	v_mad_co_u64_u32 v[5:6], null, s13, v33, v[3:4]
	v_mov_b32_e32 v1, v4
	s_delay_alu instid0(VALU_DEP_1) | instskip(NEXT) | instid1(VALU_DEP_3)
	v_lshlrev_b64_e32 v[0:1], 2, v[0:1]
	v_mov_b32_e32 v3, v5
	s_delay_alu instid0(VALU_DEP_2) | instskip(NEXT) | instid1(VALU_DEP_2)
	v_add_co_u32 v16, vcc_lo, s18, v0
	v_lshlrev_b64_e32 v[2:3], 2, v[2:3]
	s_delay_alu instid0(VALU_DEP_4) | instskip(NEXT) | instid1(VALU_DEP_2)
	v_add_co_ci_u32_e32 v17, vcc_lo, s19, v1, vcc_lo
	v_add_co_u32 v0, vcc_lo, v16, v2
	s_wait_alu 0xfffd
	s_delay_alu instid0(VALU_DEP_2) | instskip(SKIP_1) | instid1(VALU_DEP_3)
	v_add_co_ci_u32_e32 v1, vcc_lo, v17, v3, vcc_lo
	v_mad_co_u64_u32 v[2:3], null, s12, v23, 0
	v_add_co_u32 v4, vcc_lo, v0, s2
	s_wait_alu 0xfffd
	s_delay_alu instid0(VALU_DEP_3)
	v_add_co_ci_u32_e32 v5, vcc_lo, s3, v1, vcc_lo
	s_clause 0x2
	global_load_b32 v36, v11, s[8:9]
	global_load_b32 v35, v11, s[8:9] offset:48
	global_load_b32 v34, v11, s[8:9] offset:96
	global_load_b32 v18, v[0:1], off
	s_clause 0x1
	global_load_b32 v31, v11, s[8:9] offset:144
	global_load_b32 v29, v11, s[8:9] offset:192
	v_add_co_u32 v6, vcc_lo, v4, s2
	s_wait_alu 0xfffd
	v_add_co_ci_u32_e32 v7, vcc_lo, s3, v5, vcc_lo
	v_mad_co_u64_u32 v[12:13], null, s13, v23, v[3:4]
	s_delay_alu instid0(VALU_DEP_3) | instskip(SKIP_1) | instid1(VALU_DEP_3)
	v_add_co_u32 v9, vcc_lo, v6, s2
	s_wait_alu 0xfffd
	v_add_co_ci_u32_e32 v10, vcc_lo, s3, v7, vcc_lo
	s_clause 0x1
	global_load_b32 v26, v11, s[8:9] offset:240
	global_load_b32 v24, v11, s[8:9] offset:288
	s_clause 0x1
	global_load_b32 v5, v[4:5], off
	global_load_b32 v6, v[6:7], off
	v_mov_b32_e32 v3, v12
	v_mad_co_u64_u32 v[13:14], null, 0x60, s12, v[9:10]
	s_delay_alu instid0(VALU_DEP_2) | instskip(NEXT) | instid1(VALU_DEP_2)
	v_lshlrev_b64_e32 v[1:2], 2, v[2:3]
	v_mov_b32_e32 v0, v14
	s_delay_alu instid0(VALU_DEP_1) | instskip(SKIP_2) | instid1(VALU_DEP_4)
	v_mad_co_u64_u32 v[3:4], null, 0x60, s13, v[0:1]
	v_add_co_u32 v0, vcc_lo, v16, v1
	s_wait_alu 0xfffd
	v_add_co_ci_u32_e32 v1, vcc_lo, v17, v2, vcc_lo
	global_load_b32 v2, v[9:10], off
	v_mov_b32_e32 v14, v3
	global_load_b32 v3, v[0:1], off
	v_add_co_u32 v0, vcc_lo, v13, s2
	s_wait_alu 0xfffd
	v_add_co_ci_u32_e32 v1, vcc_lo, s3, v14, vcc_lo
	global_load_b32 v4, v[13:14], off
	global_load_b32 v0, v[0:1], off
	v_mul_hi_u32 v1, 0xcccccccd, v8
	s_load_b128 s[4:7], s[6:7], 0x0
	s_load_b64 s[2:3], s[0:1], 0x38
	v_cmp_gt_u16_e32 vcc_lo, 6, v15
	s_delay_alu instid0(VALU_DEP_2) | instskip(NEXT) | instid1(VALU_DEP_1)
	v_lshrrev_b32_e32 v1, 3, v1
	v_mul_lo_u32 v1, v1, 10
	s_delay_alu instid0(VALU_DEP_1) | instskip(NEXT) | instid1(VALU_DEP_1)
	v_sub_nc_u32_e32 v1, v8, v1
	v_mul_u32_u24_e32 v1, 0x54, v1
	s_delay_alu instid0(VALU_DEP_1) | instskip(NEXT) | instid1(VALU_DEP_1)
	v_lshlrev_b32_e32 v40, 2, v1
	v_add_nc_u32_e32 v28, v11, v40
	s_wait_loadcnt 0xd
	v_lshrrev_b32_e32 v39, 16, v36
	s_wait_loadcnt 0xc
	v_lshrrev_b32_e32 v38, 16, v35
	;; [unrolled: 2-line block ×5, first 2 shown]
	v_mul_f16_e32 v7, v39, v18
	s_wait_loadcnt 0x8
	v_lshrrev_b32_e32 v30, 16, v29
	v_mul_f16_e32 v9, v39, v1
	s_delay_alu instid0(VALU_DEP_3) | instskip(NEXT) | instid1(VALU_DEP_2)
	v_fma_f16 v1, v36, v1, -v7
	v_fmac_f16_e32 v9, v36, v18
	s_wait_loadcnt 0x7
	v_lshrrev_b32_e32 v27, 16, v26
	s_wait_loadcnt 0x6
	v_lshrrev_b32_e32 v25, 16, v24
	;; [unrolled: 2-line block ×3, first 2 shown]
	v_mul_f16_e32 v7, v38, v5
	s_wait_loadcnt 0x4
	v_lshrrev_b32_e32 v13, 16, v6
	v_mul_f16_e32 v14, v37, v6
	v_pack_b32_f16 v1, v9, v1
	v_mul_f16_e32 v12, v38, v10
	v_fma_f16 v7, v35, v10, -v7
	s_delay_alu instid0(VALU_DEP_4) | instskip(NEXT) | instid1(VALU_DEP_3)
	v_fma_f16 v9, v34, v13, -v14
	v_fmac_f16_e32 v12, v35, v5
	v_mul_f16_e32 v5, v37, v13
	s_delay_alu instid0(VALU_DEP_2) | instskip(NEXT) | instid1(VALU_DEP_2)
	v_pack_b32_f16 v7, v12, v7
	v_fmac_f16_e32 v5, v34, v6
	s_wait_loadcnt 0x3
	v_lshrrev_b32_e32 v10, 16, v2
	v_mul_f16_e32 v13, v32, v2
	s_wait_loadcnt 0x2
	v_lshrrev_b32_e32 v14, 16, v3
	v_mul_f16_e32 v16, v30, v3
	v_mul_f16_e32 v6, v32, v10
	v_fma_f16 v10, v31, v10, -v13
	s_delay_alu instid0(VALU_DEP_4) | instskip(NEXT) | instid1(VALU_DEP_4)
	v_mul_f16_e32 v12, v30, v14
	v_fma_f16 v14, v29, v14, -v16
	s_wait_loadcnt 0x1
	v_lshrrev_b32_e32 v13, 16, v4
	s_wait_loadcnt 0x0
	v_lshrrev_b32_e32 v16, 16, v0
	v_fmac_f16_e32 v6, v31, v2
	v_mul_f16_e32 v2, v27, v4
	v_mul_f16_e32 v18, v25, v0
	;; [unrolled: 1-line block ×4, first 2 shown]
	v_fmac_f16_e32 v12, v29, v3
	v_fma_f16 v2, v26, v13, -v2
	v_fma_f16 v3, v24, v16, -v18
	v_fmac_f16_e32 v17, v26, v4
	v_fmac_f16_e32 v19, v24, v0
	v_pack_b32_f16 v0, v5, v9
	v_pack_b32_f16 v4, v6, v10
	;; [unrolled: 1-line block ×5, first 2 shown]
	ds_store_2addr_b32 v28, v1, v7 offset1:12
	ds_store_2addr_b32 v28, v0, v4 offset0:24 offset1:36
	ds_store_2addr_b32 v28, v5, v2 offset0:48 offset1:60
	ds_store_b32 v28, v3 offset:288
	global_wb scope:SCOPE_SE
	s_wait_dscnt 0x0
	s_wait_kmcnt 0x0
	s_barrier_signal -1
	s_barrier_wait -1
	global_inv scope:SCOPE_SE
	ds_load_2addr_b32 v[0:1], v28 offset1:12
	ds_load_2addr_b32 v[2:3], v28 offset0:24 offset1:36
	ds_load_b32 v6, v28 offset:288
	ds_load_2addr_b32 v[4:5], v28 offset0:48 offset1:60
	v_mul_lo_u16 v7, v15, 7
	global_wb scope:SCOPE_SE
	s_wait_dscnt 0x0
	s_barrier_signal -1
	s_barrier_wait -1
	global_inv scope:SCOPE_SE
	v_and_b32_e32 v7, 0xffff, v7
	s_delay_alu instid0(VALU_DEP_1)
	v_lshl_add_u32 v42, v7, 2, v40
	v_pk_add_f16 v7, v1, v6
	v_pk_add_f16 v9, v2, v5
	;; [unrolled: 1-line block ×3, first 2 shown]
	v_pk_add_f16 v2, v2, v5 neg_lo:[0,1] neg_hi:[0,1]
	v_pk_add_f16 v3, v4, v3 neg_lo:[0,1] neg_hi:[0,1]
	;; [unrolled: 1-line block ×3, first 2 shown]
	v_pk_add_f16 v4, v9, v7
	v_pk_add_f16 v5, v9, v7 neg_lo:[0,1] neg_hi:[0,1]
	v_pk_add_f16 v6, v7, v10 neg_lo:[0,1] neg_hi:[0,1]
	v_pk_add_f16 v7, v3, v2
	v_pk_add_f16 v12, v1, v3 neg_lo:[0,1] neg_hi:[0,1]
	v_pk_add_f16 v13, v2, v1 neg_lo:[0,1] neg_hi:[0,1]
	;; [unrolled: 1-line block ×3, first 2 shown]
	v_pk_add_f16 v3, v10, v4
	v_pk_add_f16 v9, v10, v9 neg_lo:[0,1] neg_hi:[0,1]
	v_pk_mul_f16 v4, 0x3a52, v6 op_sel_hi:[0,1]
	v_pk_mul_f16 v5, 0x39e0, v5 op_sel_hi:[0,1]
	;; [unrolled: 1-line block ×3, first 2 shown]
	v_pk_add_f16 v1, v7, v1
	v_pk_add_f16 v7, v0, v3
	v_pk_mul_f16 v0, 0x3574, v12 op_sel_hi:[0,1]
	v_pk_add_f16 v10, v4, v5 op_sel:[1,1] op_sel_hi:[0,0] neg_lo:[1,1] neg_hi:[1,1]
	v_pk_fma_f16 v12, 0x3574, v12, v6 op_sel_hi:[0,1,1] neg_lo:[0,1,1] neg_hi:[0,1,1]
	v_pk_fma_f16 v6, 0xb846, v2, v6 op_sel_hi:[0,1,1] neg_lo:[0,1,0] neg_hi:[0,1,0]
	v_pk_fma_f16 v3, 0xbcab, v3, v7 op_sel_hi:[0,1,1]
	v_pk_fma_f16 v4, 0x2b26, v9, v4 op_sel_hi:[0,1,1]
	;; [unrolled: 1-line block ×3, first 2 shown]
	v_pk_fma_f16 v5, 0x2b26, v9, v5 op_sel_hi:[0,1,1] neg_lo:[0,1,0] neg_hi:[0,1,0]
	v_pk_fma_f16 v2, 0x370e, v1, v12 op_sel_hi:[0,1,1]
	v_pk_add_f16 v9, v10, v3 op_sel:[0,1] op_sel_hi:[1,0]
	v_pk_fma_f16 v6, 0x370e, v1, v6 op_sel_hi:[0,1,1]
	v_pk_fma_f16 v0, 0x370e, v1, v0 op_sel_hi:[0,1,1]
	v_pk_add_f16 v1, v4, v3
	v_pk_add_f16 v5, v5, v3
	;; [unrolled: 1-line block ×3, first 2 shown]
	v_pk_add_f16 v2, v9, v2 neg_lo:[0,1] neg_hi:[0,1]
	s_delay_alu instid0(VALU_DEP_4)
	v_pk_add_f16 v9, v1, v0 op_sel:[0,1] op_sel_hi:[1,0]
	v_pk_add_f16 v0, v1, v0 op_sel:[0,1] op_sel_hi:[1,0] neg_lo:[0,1] neg_hi:[0,1]
	v_pk_add_f16 v4, v5, v6 op_sel:[0,1] op_sel_hi:[1,0] neg_lo:[0,1] neg_hi:[0,1]
	v_pk_add_f16 v5, v5, v6 op_sel:[0,1] op_sel_hi:[1,0]
	v_alignbit_b32 v1, v2, v3, 16
	v_alignbit_b32 v2, v3, v2, 16
	v_bfi_b32 v10, 0xffff, v9, v0
	v_bfi_b32 v3, 0xffff, v0, v9
	;; [unrolled: 1-line block ×4, first 2 shown]
	ds_store_2addr_b32 v42, v7, v10 offset1:1
	ds_store_2addr_b32 v42, v1, v6 offset0:2 offset1:3
	ds_store_2addr_b32 v42, v4, v2 offset0:4 offset1:5
	ds_store_b32 v42, v3 offset:24
	global_wb scope:SCOPE_SE
	s_wait_dscnt 0x0
	s_barrier_signal -1
	s_barrier_wait -1
	global_inv scope:SCOPE_SE
	ds_load_2addr_b32 v[4:5], v28 offset1:12
	ds_load_2addr_b32 v[2:3], v28 offset0:24 offset1:42
	ds_load_2addr_b32 v[6:7], v28 offset0:54 offset1:66
	v_lshrrev_b32_e32 v9, 16, v9
                                        ; kill: def $vgpr1 killed $sgpr0 killed $exec
                                        ; implicit-def: $vgpr10
	s_and_saveexec_b32 s0, vcc_lo
	s_cbranch_execz .LBB0_3
; %bb.2:
	ds_load_2addr_b32 v[0:1], v28 offset0:36 offset1:78
	s_wait_dscnt 0x0
	v_lshrrev_b32_e32 v9, 16, v0
	v_lshrrev_b32_e32 v10, 16, v1
.LBB0_3:
	s_wait_alu 0xfffe
	s_or_b32 exec_lo, exec_lo, s0
	v_add_co_u32 v41, null, v33, 12
	v_add_nc_u16 v15, v33, 24
	v_add_nc_u16 v16, v33, 36
	s_wait_dscnt 0x0
	v_lshrrev_b32_e32 v44, 16, v7
	v_and_b32_e32 v12, 0xff, v41
	v_and_b32_e32 v13, 0xff, v15
	;; [unrolled: 1-line block ×3, first 2 shown]
	s_delay_alu instid0(VALU_DEP_3) | instskip(NEXT) | instid1(VALU_DEP_3)
	v_mul_lo_u16 v12, v12, 37
	v_mul_lo_u16 v13, v13, 37
	s_delay_alu instid0(VALU_DEP_3) | instskip(NEXT) | instid1(VALU_DEP_3)
	v_mul_lo_u16 v14, v14, 37
	v_lshrrev_b16 v17, 8, v12
	v_add_co_u32 v12, s0, v33, -7
	s_delay_alu instid0(VALU_DEP_4) | instskip(NEXT) | instid1(VALU_DEP_4)
	v_lshrrev_b16 v18, 8, v13
	v_lshrrev_b16 v19, 8, v14
	s_wait_alu 0xf1ff
	v_add_co_ci_u32_e64 v13, null, 0, -1, s0
	v_sub_nc_u16 v14, v41, v17
	v_cmp_gt_u16_e64 s0, 7, v33
	v_sub_nc_u16 v20, v15, v18
	v_sub_nc_u16 v21, v16, v19
	s_delay_alu instid0(VALU_DEP_4)
	v_lshrrev_b16 v14, 1, v14
	s_wait_alu 0xf1ff
	v_cndmask_b32_e64 v13, v13, 0, s0
	v_cndmask_b32_e64 v12, v12, v33, s0
	v_lshrrev_b16 v20, 1, v20
	v_lshrrev_b16 v21, 1, v21
	v_and_b32_e32 v22, 0x7f, v14
	s_delay_alu instid0(VALU_DEP_4) | instskip(NEXT) | instid1(VALU_DEP_4)
	v_lshlrev_b64_e32 v[13:14], 2, v[12:13]
	v_and_b32_e32 v20, 0x7f, v20
	s_delay_alu instid0(VALU_DEP_4) | instskip(NEXT) | instid1(VALU_DEP_4)
	v_and_b32_e32 v21, 0x7f, v21
	v_add_nc_u16 v17, v22, v17
	v_lshrrev_b32_e32 v22, 16, v2
	v_add_co_u32 v13, s0, s10, v13
	v_add_nc_u16 v18, v20, v18
	s_wait_alu 0xf1ff
	v_add_co_ci_u32_e64 v14, s0, s11, v14, s0
	v_add_nc_u16 v19, v21, v19
	v_lshrrev_b16 v17, 2, v17
	v_lshrrev_b16 v18, 2, v18
	global_load_b32 v46, v[13:14], off
	v_cmp_lt_u16_e64 s0, 6, v33
	v_lshrrev_b16 v13, 2, v19
	v_mul_lo_u16 v14, v17, 7
	v_mul_lo_u16 v19, v18, 7
	v_lshrrev_b32_e32 v21, 16, v6
	s_wait_alu 0xf1ff
	v_cndmask_b32_e64 v20, 0, 14, s0
	v_mul_lo_u16 v13, v13, 7
	v_sub_nc_u16 v14, v41, v14
	v_sub_nc_u16 v15, v15, v19
	s_delay_alu instid0(VALU_DEP_4) | instskip(NEXT) | instid1(VALU_DEP_4)
	v_add_nc_u32_e32 v12, v12, v20
	v_sub_nc_u16 v13, v16, v13
	s_delay_alu instid0(VALU_DEP_4) | instskip(NEXT) | instid1(VALU_DEP_4)
	v_and_b32_e32 v16, 0xff, v14
	v_and_b32_e32 v19, 0xff, v15
	v_mad_u16 v14, v17, 14, v14
	v_mad_u16 v15, v18, 14, v15
	v_and_b32_e32 v43, 0xff, v13
	v_lshlrev_b32_e32 v13, 2, v16
	v_lshlrev_b32_e32 v16, 2, v19
	v_lshl_add_u32 v49, v12, 2, v40
	v_and_b32_e32 v12, 0xff, v14
	v_lshlrev_b32_e32 v19, 2, v43
	s_clause 0x2
	global_load_b32 v48, v13, s[10:11]
	global_load_b32 v47, v16, s[10:11]
	;; [unrolled: 1-line block ×3, first 2 shown]
	v_lshrrev_b32_e32 v16, 16, v3
	v_lshrrev_b32_e32 v13, 16, v4
	v_and_b32_e32 v14, 0xff, v15
	v_lshrrev_b32_e32 v19, 16, v5
	global_wb scope:SCOPE_SE
	s_wait_loadcnt 0x0
	s_barrier_signal -1
	s_barrier_wait -1
	v_lshl_add_u32 v51, v14, 2, v40
	global_inv scope:SCOPE_SE
	v_lshrrev_b32_e32 v52, 16, v46
	s_delay_alu instid0(VALU_DEP_1) | instskip(SKIP_1) | instid1(VALU_DEP_2)
	v_mul_f16_e32 v20, v16, v52
	v_mul_f16_e32 v50, v3, v52
	v_fma_f16 v3, v3, v46, -v20
	s_delay_alu instid0(VALU_DEP_2) | instskip(NEXT) | instid1(VALU_DEP_2)
	v_fmac_f16_e32 v50, v16, v46
	v_sub_f16_e32 v3, v4, v3
	s_delay_alu instid0(VALU_DEP_2) | instskip(SKIP_1) | instid1(VALU_DEP_3)
	v_sub_f16_e32 v15, v13, v50
	v_lshl_add_u32 v50, v12, 2, v40
	v_fma_f16 v4, v4, 2.0, -v3
	s_delay_alu instid0(VALU_DEP_3)
	v_fma_f16 v12, v13, 2.0, -v15
	v_pack_b32_f16 v3, v3, v15
	v_lshrrev_b32_e32 v56, 16, v48
	v_lshrrev_b32_e32 v55, 16, v47
	;; [unrolled: 1-line block ×3, first 2 shown]
	v_pack_b32_f16 v4, v4, v12
	s_delay_alu instid0(VALU_DEP_4)
	v_mul_f16_e32 v12, v21, v56
	v_mul_f16_e32 v13, v6, v56
	;; [unrolled: 1-line block ×6, first 2 shown]
	v_fma_f16 v6, v6, v48, -v12
	v_fmac_f16_e32 v13, v21, v48
	v_fma_f16 v7, v7, v47, -v14
	v_fmac_f16_e32 v15, v44, v47
	;; [unrolled: 2-line block ×3, first 2 shown]
	v_sub_f16_e32 v6, v5, v6
	v_sub_f16_e32 v10, v19, v13
	;; [unrolled: 1-line block ×6, first 2 shown]
	v_fma_f16 v1, v5, 2.0, -v6
	v_fma_f16 v5, v19, 2.0, -v10
	;; [unrolled: 1-line block ×6, first 2 shown]
	v_pack_b32_f16 v0, v6, v10
	v_pack_b32_f16 v1, v1, v5
	;; [unrolled: 1-line block ×4, first 2 shown]
	ds_store_2addr_b32 v49, v4, v3 offset1:7
	ds_store_2addr_b32 v50, v1, v0 offset1:7
	;; [unrolled: 1-line block ×3, first 2 shown]
	s_and_saveexec_b32 s0, vcc_lo
	s_cbranch_execz .LBB0_5
; %bb.4:
	v_lshl_add_u32 v0, v43, 2, v40
	v_perm_b32 v1, v66, v15, 0x5040100
	v_perm_b32 v2, v60, v16, 0x5040100
	ds_store_2addr_b32 v0, v1, v2 offset0:70 offset1:77
.LBB0_5:
	s_wait_alu 0xfffe
	s_or_b32 exec_lo, exec_lo, s0
	global_wb scope:SCOPE_SE
	s_wait_dscnt 0x0
	s_barrier_signal -1
	s_barrier_wait -1
	global_inv scope:SCOPE_SE
	ds_load_2addr_b32 v[9:10], v28 offset1:14
	ds_load_2addr_b32 v[21:22], v28 offset0:28 offset1:42
	ds_load_2addr_b32 v[19:20], v28 offset0:56 offset1:70
	v_add_co_u32 v13, s0, s8, v11
	s_wait_alu 0xf1ff
	v_add_co_ci_u32_e64 v14, null, s9, 0, s0
	v_cmp_gt_u16_e64 s0, 2, v33
                                        ; implicit-def: $vgpr11
                                        ; implicit-def: $vgpr64
                                        ; implicit-def: $vgpr68
                                        ; implicit-def: $vgpr17
                                        ; implicit-def: $vgpr69
                                        ; implicit-def: $vgpr70
	s_delay_alu instid0(VALU_DEP_1)
	s_and_saveexec_b32 s1, s0
	s_cbranch_execz .LBB0_7
; %bb.6:
	ds_load_2addr_b32 v[15:16], v28 offset0:12 offset1:26
	ds_load_2addr_b32 v[11:12], v28 offset0:40 offset1:54
	;; [unrolled: 1-line block ×3, first 2 shown]
	s_wait_dscnt 0x2
	v_lshrrev_b32_e32 v66, 16, v15
	v_lshrrev_b32_e32 v60, 16, v16
	s_wait_dscnt 0x1
	v_lshrrev_b32_e32 v64, 16, v11
	v_lshrrev_b32_e32 v68, 16, v12
	s_wait_dscnt 0x0
	v_lshrrev_b32_e32 v69, 16, v17
	v_lshrrev_b32_e32 v70, 16, v18
.LBB0_7:
	s_wait_alu 0xfffe
	s_or_b32 exec_lo, exec_lo, s1
	v_mad_co_u64_u32 v[0:1], null, v33, 20, s[10:11]
	v_add_nc_u32_e32 v2, -2, v33
	s_wait_dscnt 0x0
	v_lshrrev_b32_e32 v72, 16, v19
	v_lshrrev_b32_e32 v59, 16, v22
	;; [unrolled: 1-line block ×4, first 2 shown]
	s_clause 0x1
	global_load_b128 v[4:7], v[0:1], off offset:28
	global_load_b32 v53, v[0:1], off offset:44
	v_cndmask_b32_e64 v0, v2, v41, s0
	v_lshl_add_u32 v41, v33, 2, v40
	s_delay_alu instid0(VALU_DEP_2) | instskip(SKIP_1) | instid1(VALU_DEP_2)
	v_mul_i32_i24_e32 v1, 20, v0
	v_mul_hi_i32_i24_e32 v0, 20, v0
	v_add_co_u32 v57, s1, s10, v1
	s_wait_alu 0xf1ff
	s_delay_alu instid0(VALU_DEP_2)
	v_add_co_ci_u32_e64 v58, s1, s11, v0, s1
	s_clause 0x1
	global_load_b128 v[0:3], v[57:58], off offset:28
	global_load_b32 v44, v[57:58], off offset:44
	v_lshrrev_b32_e32 v57, 16, v10
	v_lshrrev_b32_e32 v58, 16, v21
	s_wait_loadcnt 0x3
	v_lshrrev_b32_e32 v67, 16, v4
	v_lshrrev_b32_e32 v65, 16, v5
	;; [unrolled: 1-line block ×4, first 2 shown]
	s_wait_loadcnt 0x2
	v_lshrrev_b32_e32 v61, 16, v53
	v_mul_f16_e32 v74, v57, v67
	v_mul_f16_e32 v75, v10, v67
	;; [unrolled: 1-line block ×10, first 2 shown]
	v_fma_f16 v10, v10, v4, -v74
	v_fmac_f16_e32 v75, v57, v4
	v_fma_f16 v74, v21, v5, -v76
	v_fmac_f16_e32 v77, v58, v5
	v_fmac_f16_e32 v79, v59, v6
	v_fma_f16 v19, v19, v7, -v80
	s_wait_loadcnt 0x1
	v_lshrrev_b32_e32 v59, 16, v1
	v_lshrrev_b32_e32 v58, 16, v2
	;; [unrolled: 1-line block ×3, first 2 shown]
	s_wait_loadcnt 0x0
	v_lshrrev_b32_e32 v57, 16, v44
	v_fma_f16 v76, v22, v6, -v78
	v_fmac_f16_e32 v81, v72, v7
	v_fma_f16 v20, v20, v53, -v82
	v_fmac_f16_e32 v83, v73, v53
	v_lshrrev_b32_e32 v22, 16, v0
	v_add_f16_e32 v73, v74, v19
	v_mul_f16_e32 v90, v11, v59
	v_mul_f16_e32 v91, v68, v58
	;; [unrolled: 1-line block ×6, first 2 shown]
	v_add_f16_e32 v72, v9, v74
	v_sub_f16_e32 v78, v77, v81
	v_add_f16_e32 v80, v71, v77
	v_add_f16_e32 v77, v77, v81
	;; [unrolled: 1-line block ×4, first 2 shown]
	v_sub_f16_e32 v85, v79, v83
	v_add_f16_e32 v86, v75, v79
	v_add_f16_e32 v79, v79, v83
	v_mul_f16_e32 v87, v60, v22
	v_mul_f16_e32 v88, v16, v22
	;; [unrolled: 1-line block ×4, first 2 shown]
	v_fmac_f16_e32 v9, -0.5, v73
	v_fmac_f16_e32 v90, v64, v1
	v_fma_f16 v12, v12, v2, -v91
	v_fmac_f16_e32 v92, v68, v2
	v_fmac_f16_e32 v94, v69, v3
	v_fma_f16 v18, v18, v44, -v95
	v_fmac_f16_e32 v96, v70, v44
	v_sub_f16_e32 v74, v74, v19
	v_sub_f16_e32 v76, v76, v20
	v_add_f16_e32 v19, v72, v19
	v_add_f16_e32 v72, v80, v81
	v_fmac_f16_e32 v71, -0.5, v77
	v_add_f16_e32 v20, v82, v20
	v_fmac_f16_e32 v10, -0.5, v84
	;; [unrolled: 2-line block ×3, first 2 shown]
	v_fma_f16 v77, v16, v0, -v87
	v_fmac_f16_e32 v88, v60, v0
	v_fma_f16 v11, v11, v1, -v89
	v_fma_f16 v16, v17, v3, -v93
	v_fmamk_f16 v64, v78, 0x3aee, v9
	v_fmac_f16_e32 v9, 0xbaee, v78
	v_add_f16_e32 v78, v90, v94
	v_add_f16_e32 v80, v12, v18
	;; [unrolled: 1-line block ×3, first 2 shown]
	v_fmamk_f16 v60, v85, 0x3aee, v10
	v_fmac_f16_e32 v10, 0xbaee, v85
	v_fmamk_f16 v70, v76, 0xbaee, v75
	v_fmac_f16_e32 v75, 0x3aee, v76
	v_add_f16_e32 v17, v19, v20
	v_add_f16_e32 v69, v72, v73
	v_sub_f16_e32 v19, v19, v20
	v_sub_f16_e32 v20, v72, v73
	v_add_f16_e32 v72, v15, v11
	v_add_f16_e32 v73, v11, v16
	;; [unrolled: 1-line block ×3, first 2 shown]
	v_sub_f16_e32 v11, v11, v16
	v_add_f16_e32 v79, v77, v12
	v_sub_f16_e32 v81, v92, v96
	v_add_f16_e32 v82, v88, v92
	v_sub_f16_e32 v12, v12, v18
	v_fmac_f16_e32 v66, -0.5, v78
	v_fmac_f16_e32 v77, -0.5, v80
	;; [unrolled: 1-line block ×3, first 2 shown]
	v_fmamk_f16 v68, v74, 0xbaee, v71
	v_fmac_f16_e32 v71, 0x3aee, v74
	v_sub_f16_e32 v74, v90, v94
	v_mul_f16_e32 v84, 0x3aee, v70
	v_mul_f16_e32 v85, -0.5, v10
	v_mul_f16_e32 v86, 0xbaee, v60
	v_mul_f16_e32 v87, -0.5, v75
	v_pack_b32_f16 v90, v19, v20
	v_add_f16_e32 v16, v72, v16
	v_fmamk_f16 v72, v11, 0xbaee, v66
	v_fmac_f16_e32 v66, 0x3aee, v11
	v_fmamk_f16 v11, v81, 0x3aee, v77
	v_fmac_f16_e32 v77, 0xbaee, v81
	;; [unrolled: 2-line block ×3, first 2 shown]
	v_pack_b32_f16 v89, v17, v69
	v_fmac_f16_e32 v15, -0.5, v73
	v_add_f16_e32 v17, v76, v94
	v_add_f16_e32 v18, v79, v18
	v_fmac_f16_e32 v84, 0.5, v60
	v_fmac_f16_e32 v85, 0x3aee, v75
	v_fmac_f16_e32 v86, 0.5, v70
	v_fmac_f16_e32 v87, 0xbaee, v10
	v_mul_f16_e32 v75, 0x3aee, v19
	v_mul_f16_e32 v76, -0.5, v77
	v_mul_f16_e32 v78, 0xbaee, v11
	v_mul_f16_e32 v79, -0.5, v88
	v_add_f16_e32 v69, v82, v96
	v_fmamk_f16 v70, v74, 0x3aee, v15
	v_fmac_f16_e32 v15, 0xbaee, v74
	v_add_f16_e32 v12, v64, v84
	v_add_f16_e32 v20, v9, v85
	;; [unrolled: 1-line block ×4, first 2 shown]
	v_sub_f16_e32 v64, v64, v84
	v_sub_f16_e32 v9, v9, v85
	;; [unrolled: 1-line block ×4, first 2 shown]
	v_fmac_f16_e32 v75, 0.5, v11
	v_fmac_f16_e32 v76, 0x3aee, v88
	v_fmac_f16_e32 v78, 0.5, v19
	v_fmac_f16_e32 v79, 0xbaee, v77
	v_sub_f16_e32 v10, v16, v18
	v_sub_f16_e32 v60, v17, v69
	v_pack_b32_f16 v73, v12, v73
	v_pack_b32_f16 v74, v20, v74
	;; [unrolled: 1-line block ×4, first 2 shown]
	v_add_f16_e32 v19, v70, v75
	v_add_f16_e32 v9, v15, v76
	;; [unrolled: 1-line block ×4, first 2 shown]
	v_sub_f16_e32 v11, v70, v75
	v_sub_f16_e32 v12, v15, v76
	;; [unrolled: 1-line block ×4, first 2 shown]
	ds_store_2addr_b32 v41, v73, v74 offset0:14 offset1:28
	ds_store_2addr_b32 v41, v90, v80 offset0:42 offset1:56
	ds_store_b32 v28, v89
	ds_store_b32 v41, v71 offset:280
	s_and_saveexec_b32 s1, s0
	s_cbranch_execz .LBB0_9
; %bb.8:
	v_add_f16_e32 v15, v17, v69
	v_add_f16_e32 v16, v16, v18
	v_perm_b32 v17, v20, v19, 0x5040100
	v_perm_b32 v18, v68, v9, 0x5040100
	;; [unrolled: 1-line block ×4, first 2 shown]
	v_pack_b32_f16 v15, v16, v15
	v_perm_b32 v16, v60, v10, 0x5040100
	ds_store_b32 v28, v15 offset:48
	ds_store_2addr_b32 v41, v17, v18 offset0:26 offset1:40
	ds_store_2addr_b32 v41, v16, v69 offset0:54 offset1:68
	ds_store_b32 v41, v70 offset:328
.LBB0_9:
	s_wait_alu 0xfffe
	s_or_b32 exec_lo, exec_lo, s1
	global_wb scope:SCOPE_SE
	s_wait_dscnt 0x0
	s_barrier_signal -1
	s_barrier_wait -1
	global_inv scope:SCOPE_SE
	global_load_b32 v69, v[13:14], off offset:336
	v_lshlrev_b32_e32 v13, 2, v33
	s_add_nc_u64 s[8:9], s[8:9], 0x150
	s_clause 0x5
	global_load_b32 v70, v13, s[8:9] offset:48
	global_load_b32 v71, v13, s[8:9] offset:96
	;; [unrolled: 1-line block ×6, first 2 shown]
	ds_load_2addr_b32 v[13:14], v28 offset1:12
	ds_load_2addr_b32 v[15:16], v28 offset0:24 offset1:48
	ds_load_b32 v76, v41 offset:144
	ds_load_2addr_b32 v[17:18], v28 offset0:60 offset1:72
	s_wait_dscnt 0x3
	v_lshrrev_b32_e32 v77, 16, v13
	v_lshrrev_b32_e32 v78, 16, v14
	s_wait_dscnt 0x2
	v_lshrrev_b32_e32 v79, 16, v15
	s_wait_dscnt 0x1
	v_lshrrev_b32_e32 v81, 16, v76
	v_lshrrev_b32_e32 v82, 16, v16
	s_wait_dscnt 0x0
	v_lshrrev_b32_e32 v83, 16, v17
	v_lshrrev_b32_e32 v84, 16, v18
	s_wait_loadcnt 0x6
	v_lshrrev_b32_e32 v80, 16, v69
	s_wait_loadcnt 0x5
	;; [unrolled: 2-line block ×5, first 2 shown]
	v_lshrrev_b32_e32 v89, 16, v73
	v_mul_f16_e32 v85, v77, v80
	v_mul_f16_e32 v80, v13, v80
	s_wait_loadcnt 0x1
	v_lshrrev_b32_e32 v90, 16, v74
	s_wait_loadcnt 0x0
	v_lshrrev_b32_e32 v91, 16, v75
	v_mul_f16_e32 v92, v82, v89
	v_fma_f16 v13, v13, v69, -v85
	v_fmac_f16_e32 v80, v77, v69
	v_mul_f16_e32 v69, v78, v86
	v_mul_f16_e32 v77, v14, v86
	;; [unrolled: 1-line block ×11, first 2 shown]
	v_fma_f16 v14, v14, v70, -v69
	v_fmac_f16_e32 v77, v78, v70
	v_fma_f16 v69, v76, v72, -v87
	v_fmac_f16_e32 v88, v81, v72
	;; [unrolled: 2-line block ×6, first 2 shown]
	v_pack_b32_f16 v13, v13, v80
	v_pack_b32_f16 v14, v14, v77
	;; [unrolled: 1-line block ×7, first 2 shown]
	ds_store_2addr_b32 v28, v13, v14 offset1:12
	ds_store_b32 v41, v69 offset:144
	ds_store_2addr_b32 v28, v15, v16 offset0:24 offset1:48
	ds_store_2addr_b32 v28, v17, v18 offset0:60 offset1:72
	global_wb scope:SCOPE_SE
	s_wait_dscnt 0x0
	s_barrier_signal -1
	s_barrier_wait -1
	global_inv scope:SCOPE_SE
	ds_load_2addr_b32 v[13:14], v28 offset1:12
	ds_load_2addr_b32 v[15:16], v28 offset0:60 offset1:72
	ds_load_2addr_b32 v[17:18], v28 offset0:24 offset1:48
	ds_load_b32 v69, v41 offset:144
	global_wb scope:SCOPE_SE
	s_wait_dscnt 0x0
	s_barrier_signal -1
	s_barrier_wait -1
	global_inv scope:SCOPE_SE
	v_pk_add_f16 v70, v14, v16
	v_pk_add_f16 v71, v17, v15
	;; [unrolled: 1-line block ×3, first 2 shown]
	v_pk_add_f16 v15, v17, v15 neg_lo:[0,1] neg_hi:[0,1]
	v_pk_add_f16 v17, v18, v69 neg_lo:[0,1] neg_hi:[0,1]
	;; [unrolled: 1-line block ×3, first 2 shown]
	v_pk_add_f16 v16, v71, v70
	v_pk_add_f16 v18, v71, v70 neg_lo:[0,1] neg_hi:[0,1]
	v_pk_add_f16 v69, v70, v72 neg_lo:[0,1] neg_hi:[0,1]
	v_pk_add_f16 v70, v17, v15
	v_pk_add_f16 v73, v14, v17 neg_lo:[0,1] neg_hi:[0,1]
	v_pk_add_f16 v74, v15, v14 neg_lo:[0,1] neg_hi:[0,1]
	;; [unrolled: 3-line block ×3, first 2 shown]
	v_pk_mul_f16 v17, 0x3a52, v69 op_sel_hi:[0,1]
	v_pk_mul_f16 v18, 0x39e0, v18 op_sel_hi:[0,1]
	;; [unrolled: 1-line block ×3, first 2 shown]
	v_pk_add_f16 v14, v70, v14
	v_pk_add_f16 v13, v13, v16
	v_pk_mul_f16 v70, 0xb574, v73 op_sel_hi:[0,1]
	v_pk_add_f16 v72, v17, v18 op_sel:[1,1] op_sel_hi:[0,0] neg_lo:[1,1] neg_hi:[1,1]
	v_pk_fma_f16 v73, 0xb574, v73, v69 op_sel_hi:[0,1,1] neg_lo:[0,1,1] neg_hi:[0,1,1]
	v_pk_fma_f16 v18, 0x2b26, v71, v18 op_sel_hi:[0,1,1] neg_lo:[0,1,0] neg_hi:[0,1,0]
	v_pk_fma_f16 v16, 0xbcab, v16, v13 op_sel_hi:[0,1,1]
	v_pk_fma_f16 v69, 0x3846, v15, v69 op_sel_hi:[0,1,1] neg_lo:[0,1,0] neg_hi:[0,1,0]
	v_pk_fma_f16 v17, 0x2b26, v71, v17 op_sel_hi:[0,1,1]
	v_pk_fma_f16 v15, 0x3846, v15, v70 op_sel_hi:[0,1,1]
	;; [unrolled: 1-line block ×3, first 2 shown]
	v_pk_add_f16 v71, v72, v16 op_sel:[0,1] op_sel_hi:[1,0]
	v_pk_fma_f16 v69, 0xb70e, v14, v69 op_sel_hi:[0,1,1]
	v_pk_add_f16 v18, v18, v16
	v_pk_fma_f16 v14, 0xb70e, v14, v15 op_sel_hi:[0,1,1]
	v_pk_add_f16 v15, v17, v16
	v_pk_add_f16 v16, v71, v70
	v_pk_add_f16 v17, v71, v70 neg_lo:[0,1] neg_hi:[0,1]
	v_pk_add_f16 v70, v18, v69 op_sel:[0,1] op_sel_hi:[1,0] neg_lo:[0,1] neg_hi:[0,1]
	v_pk_add_f16 v18, v18, v69 op_sel:[0,1] op_sel_hi:[1,0]
	v_pk_add_f16 v71, v15, v14 op_sel:[0,1] op_sel_hi:[1,0]
	v_pk_add_f16 v69, v15, v14 op_sel:[0,1] op_sel_hi:[1,0] neg_lo:[0,1] neg_hi:[0,1]
	v_alignbit_b32 v14, v17, v16, 16
	v_alignbit_b32 v16, v16, v17, 16
	v_bfi_b32 v15, 0xffff, v70, v18
	v_bfi_b32 v18, 0xffff, v18, v70
	;; [unrolled: 1-line block ×4, first 2 shown]
	ds_store_2addr_b32 v42, v13, v72 offset1:1
	ds_store_2addr_b32 v42, v14, v15 offset0:2 offset1:3
	ds_store_2addr_b32 v42, v18, v16 offset0:4 offset1:5
	ds_store_b32 v42, v17 offset:24
	global_wb scope:SCOPE_SE
	s_wait_dscnt 0x0
	s_barrier_signal -1
	s_barrier_wait -1
	global_inv scope:SCOPE_SE
	ds_load_2addr_b32 v[15:16], v28 offset1:12
	ds_load_2addr_b32 v[13:14], v28 offset0:24 offset1:42
	ds_load_2addr_b32 v[17:18], v28 offset0:54 offset1:66
	v_lshrrev_b32_e32 v42, 16, v71
	s_and_saveexec_b32 s1, vcc_lo
	s_cbranch_execz .LBB0_11
; %bb.10:
	ds_load_b32 v69, v41 offset:144
	ds_load_b32 v19, v28 offset:312
	s_wait_dscnt 0x1
	v_lshrrev_b32_e32 v42, 16, v69
	s_wait_dscnt 0x0
	v_lshrrev_b32_e32 v20, 16, v19
.LBB0_11:
	s_wait_alu 0xfffe
	s_or_b32 exec_lo, exec_lo, s1
	s_wait_dscnt 0x1
	v_lshrrev_b32_e32 v70, 16, v14
	s_wait_dscnt 0x0
	v_lshrrev_b32_e32 v73, 16, v17
	v_lshrrev_b32_e32 v76, 16, v18
	v_mul_f16_e32 v77, v56, v17
	v_lshrrev_b32_e32 v71, 16, v15
	v_mul_f16_e32 v75, v52, v70
	v_mul_f16_e32 v52, v52, v14
	;; [unrolled: 1-line block ×3, first 2 shown]
	v_lshrrev_b32_e32 v72, 16, v16
	v_lshrrev_b32_e32 v74, 16, v13
	v_fmac_f16_e32 v75, v46, v14
	v_mul_f16_e32 v14, v55, v76
	v_fma_f16 v46, v46, v70, -v52
	v_mul_f16_e32 v52, v55, v18
	v_fmac_f16_e32 v56, v48, v17
	v_fma_f16 v17, v48, v73, -v77
	v_fmac_f16_e32 v14, v47, v18
	v_mul_f16_e32 v18, v54, v20
	v_mul_f16_e32 v48, v54, v19
	v_fma_f16 v47, v47, v76, -v52
	v_sub_f16_e32 v52, v15, v75
	v_sub_f16_e32 v46, v71, v46
	v_fmac_f16_e32 v18, v45, v19
	v_fma_f16 v20, v45, v20, -v48
	v_sub_f16_e32 v19, v16, v56
	v_sub_f16_e32 v17, v72, v17
	;; [unrolled: 1-line block ×4, first 2 shown]
	v_fma_f16 v15, v15, 2.0, -v52
	v_fma_f16 v48, v71, 2.0, -v46
	v_sub_f16_e32 v14, v69, v18
	v_sub_f16_e32 v45, v42, v20
	v_fma_f16 v16, v16, 2.0, -v19
	v_fma_f16 v18, v72, 2.0, -v17
	v_fma_f16 v20, v13, 2.0, -v54
	v_fma_f16 v55, v74, 2.0, -v47
	v_fma_f16 v13, v69, 2.0, -v14
	v_fma_f16 v42, v42, 2.0, -v45
	v_pack_b32_f16 v15, v15, v48
	v_pack_b32_f16 v46, v52, v46
	;; [unrolled: 1-line block ×6, first 2 shown]
	global_wb scope:SCOPE_SE
	s_barrier_signal -1
	s_barrier_wait -1
	global_inv scope:SCOPE_SE
	ds_store_2addr_b32 v49, v15, v46 offset1:7
	ds_store_2addr_b32 v50, v16, v17 offset1:7
	;; [unrolled: 1-line block ×3, first 2 shown]
	s_and_saveexec_b32 s1, vcc_lo
	s_cbranch_execz .LBB0_13
; %bb.12:
	v_lshl_add_u32 v15, v43, 2, v40
	v_perm_b32 v16, v42, v13, 0x5040100
	v_perm_b32 v17, v45, v14, 0x5040100
	ds_store_2addr_b32 v15, v16, v17 offset0:70 offset1:77
.LBB0_13:
	s_wait_alu 0xfffe
	s_or_b32 exec_lo, exec_lo, s1
	global_wb scope:SCOPE_SE
	s_wait_dscnt 0x0
	s_barrier_signal -1
	s_barrier_wait -1
	global_inv scope:SCOPE_SE
	ds_load_2addr_b32 v[15:16], v28 offset1:14
	ds_load_2addr_b32 v[19:20], v28 offset0:28 offset1:42
	ds_load_2addr_b32 v[17:18], v28 offset0:56 offset1:70
	s_and_saveexec_b32 s1, s0
	s_cbranch_execz .LBB0_15
; %bb.14:
	ds_load_2addr_b32 v[13:14], v28 offset0:12 offset1:26
	ds_load_2addr_b32 v[9:10], v28 offset0:40 offset1:54
	;; [unrolled: 1-line block ×3, first 2 shown]
	s_wait_dscnt 0x2
	v_lshrrev_b32_e32 v42, 16, v13
	v_lshrrev_b32_e32 v45, 16, v14
	s_wait_dscnt 0x1
	v_lshrrev_b32_e32 v68, 16, v9
	v_lshrrev_b32_e32 v60, 16, v10
	;; [unrolled: 3-line block ×3, first 2 shown]
.LBB0_15:
	s_wait_alu 0xfffe
	s_or_b32 exec_lo, exec_lo, s1
	s_wait_dscnt 0x2
	v_lshrrev_b32_e32 v40, 16, v16
	s_wait_dscnt 0x1
	v_lshrrev_b32_e32 v46, 16, v19
	v_lshrrev_b32_e32 v47, 16, v20
	s_wait_dscnt 0x0
	v_lshrrev_b32_e32 v48, 16, v17
	v_mul_f16_e32 v50, v67, v16
	v_mul_f16_e32 v49, v67, v40
	;; [unrolled: 1-line block ×4, first 2 shown]
	v_lshrrev_b32_e32 v51, 16, v18
	v_lshrrev_b32_e32 v43, 16, v15
	v_fmac_f16_e32 v49, v4, v16
	v_mul_f16_e32 v16, v63, v47
	v_fmac_f16_e32 v52, v5, v19
	v_mul_f16_e32 v19, v62, v48
	v_fma_f16 v4, v4, v40, -v50
	v_mul_f16_e32 v40, v63, v20
	v_fmac_f16_e32 v16, v6, v20
	v_mul_f16_e32 v20, v62, v17
	v_fmac_f16_e32 v19, v7, v17
	v_fma_f16 v5, v5, v46, -v54
	v_mul_f16_e32 v17, v61, v51
	v_fma_f16 v6, v6, v47, -v40
	v_mul_f16_e32 v40, v61, v18
	v_fma_f16 v7, v7, v48, -v20
	v_add_f16_e32 v20, v52, v19
	v_fmac_f16_e32 v17, v53, v18
	v_add_f16_e32 v18, v15, v52
	v_fma_f16 v40, v53, v51, -v40
	v_add_f16_e32 v46, v5, v7
	v_fmac_f16_e32 v15, -0.5, v20
	v_sub_f16_e32 v20, v5, v7
	v_add_f16_e32 v5, v43, v5
	v_add_f16_e32 v18, v18, v19
	v_fmac_f16_e32 v43, -0.5, v46
	v_sub_f16_e32 v19, v52, v19
	v_fmamk_f16 v46, v20, 0xbaee, v15
	v_fmac_f16_e32 v15, 0x3aee, v20
	v_add_f16_e32 v20, v6, v40
	v_add_f16_e32 v47, v16, v17
	;; [unrolled: 1-line block ×4, first 2 shown]
	v_fmamk_f16 v7, v19, 0x3aee, v43
	v_fmac_f16_e32 v4, -0.5, v20
	v_sub_f16_e32 v20, v16, v17
	v_add_f16_e32 v16, v49, v16
	v_fmac_f16_e32 v49, -0.5, v47
	v_sub_f16_e32 v6, v6, v40
	v_fmac_f16_e32 v43, 0xbaee, v19
	v_fmamk_f16 v19, v20, 0x3aee, v4
	v_fmac_f16_e32 v4, 0xbaee, v20
	v_add_f16_e32 v16, v16, v17
	v_fmamk_f16 v17, v6, 0xbaee, v49
	v_fmac_f16_e32 v49, 0x3aee, v6
	v_mul_f16_e32 v6, 0xbaee, v19
	v_mul_f16_e32 v20, 0xbaee, v4
	v_mul_f16_e32 v19, 0.5, v19
	v_mul_f16_e32 v4, -0.5, v4
	v_add_f16_e32 v40, v48, v40
	v_fmac_f16_e32 v6, 0.5, v17
	v_fmac_f16_e32 v20, -0.5, v49
	v_fmac_f16_e32 v19, 0x3aee, v17
	v_fmac_f16_e32 v4, 0x3aee, v49
	v_add_f16_e32 v47, v18, v16
	v_add_f16_e32 v49, v5, v40
	;; [unrolled: 1-line block ×6, first 2 shown]
	v_sub_f16_e32 v16, v18, v16
	v_sub_f16_e32 v6, v46, v6
	;; [unrolled: 1-line block ×6, first 2 shown]
	v_pack_b32_f16 v18, v47, v49
	v_pack_b32_f16 v17, v17, v50
	;; [unrolled: 1-line block ×6, first 2 shown]
	ds_store_b32 v28, v18
	ds_store_2addr_b32 v41, v17, v19 offset0:14 offset1:28
	ds_store_2addr_b32 v41, v5, v6 offset0:42 offset1:56
	ds_store_b32 v41, v4 offset:280
	s_and_saveexec_b32 s1, s0
	s_cbranch_execz .LBB0_17
; %bb.16:
	v_mul_f16_e32 v7, v58, v10
	v_mul_f16_e32 v16, v57, v12
	;; [unrolled: 1-line block ×6, first 2 shown]
	v_fma_f16 v7, v2, v60, -v7
	v_mul_f16_e32 v19, v22, v14
	v_fma_f16 v16, v44, v66, -v16
	v_mul_f16_e32 v6, v59, v68
	v_fma_f16 v4, v1, v68, -v4
	v_fma_f16 v5, v3, v64, -v5
	v_fmac_f16_e32 v17, v44, v12
	v_mul_f16_e32 v12, v21, v64
	v_mul_f16_e32 v20, v22, v45
	v_fmac_f16_e32 v15, v2, v10
	v_fma_f16 v2, v0, v45, -v19
	v_add_f16_e32 v10, v7, v16
	v_add_f16_e32 v18, v4, v5
	v_fmac_f16_e32 v6, v1, v9
	v_fmac_f16_e32 v12, v3, v11
	;; [unrolled: 1-line block ×3, first 2 shown]
	v_add_f16_e32 v0, v15, v17
	v_fma_f16 v1, -0.5, v10, v2
	v_sub_f16_e32 v9, v15, v17
	v_fma_f16 v11, -0.5, v18, v42
	v_sub_f16_e32 v14, v6, v12
	v_add_f16_e32 v22, v6, v12
	v_fma_f16 v0, -0.5, v0, v20
	v_sub_f16_e32 v3, v7, v16
	v_fmamk_f16 v10, v9, 0xbaee, v1
	v_fmac_f16_e32 v1, 0x3aee, v9
	v_add_f16_e32 v21, v4, v42
	v_fmamk_f16 v19, v14, 0xbaee, v11
	v_fmac_f16_e32 v11, 0x3aee, v14
	v_add_f16_e32 v2, v7, v2
	v_fma_f16 v14, -0.5, v22, v13
	v_sub_f16_e32 v4, v4, v5
	v_add_f16_e32 v6, v6, v13
	v_add_f16_e32 v13, v15, v20
	v_fmamk_f16 v18, v3, 0x3aee, v0
	v_mul_f16_e32 v9, -0.5, v10
	v_fmac_f16_e32 v0, 0xbaee, v3
	v_mul_f16_e32 v3, 0.5, v1
	v_add_f16_e32 v7, v5, v21
	v_mul_f16_e32 v5, 0xbaee, v10
	v_mul_f16_e32 v1, 0xbaee, v1
	v_add_f16_e32 v2, v16, v2
	v_fmamk_f16 v21, v4, 0x3aee, v14
	v_fmac_f16_e32 v14, 0xbaee, v4
	v_add_f16_e32 v4, v12, v6
	v_add_f16_e32 v6, v17, v13
	v_fmac_f16_e32 v9, 0x3aee, v18
	v_fmac_f16_e32 v3, 0x3aee, v0
	v_fmac_f16_e32 v5, -0.5, v18
	v_fmac_f16_e32 v1, 0.5, v0
	v_sub_f16_e32 v18, v7, v2
	v_add_f16_e32 v2, v7, v2
	v_add_f16_e32 v7, v4, v6
	v_sub_f16_e32 v10, v19, v9
	v_sub_f16_e32 v16, v11, v3
	;; [unrolled: 1-line block ×3, first 2 shown]
	v_add_f16_e32 v0, v19, v9
	v_add_f16_e32 v3, v11, v3
	;; [unrolled: 1-line block ×4, first 2 shown]
	v_sub_f16_e32 v4, v4, v6
	v_sub_f16_e32 v1, v14, v1
	v_pack_b32_f16 v2, v7, v2
	v_pack_b32_f16 v3, v9, v3
	;; [unrolled: 1-line block ×6, first 2 shown]
	ds_store_b32 v28, v2 offset:48
	ds_store_2addr_b32 v41, v3, v0 offset0:26 offset1:40
	ds_store_2addr_b32 v41, v4, v1 offset0:54 offset1:68
	ds_store_b32 v41, v5 offset:328
.LBB0_17:
	s_wait_alu 0xfffe
	s_or_b32 exec_lo, exec_lo, s1
	global_wb scope:SCOPE_SE
	s_wait_dscnt 0x0
	s_barrier_signal -1
	s_barrier_wait -1
	global_inv scope:SCOPE_SE
	ds_load_2addr_b32 v[0:1], v28 offset1:12
	ds_load_2addr_b32 v[2:3], v28 offset0:24 offset1:48
	s_mov_b32 s8, 0x18618618
	s_mov_b32 s9, 0x3f886186
	v_mad_co_u64_u32 v[15:16], null, s6, v8, 0
	v_mad_co_u64_u32 v[17:18], null, s4, v33, 0
	s_wait_dscnt 0x1
	v_lshrrev_b32_e32 v4, 16, v0
	v_mul_f16_e32 v5, v39, v0
	v_lshrrev_b32_e32 v6, 16, v1
	v_mul_f16_e32 v7, v38, v1
	s_wait_dscnt 0x0
	v_lshrrev_b32_e32 v13, 16, v2
	v_mul_f16_e32 v9, v39, v4
	v_fma_f16 v5, v36, v4, -v5
	v_mul_f16_e32 v10, v38, v6
	v_fma_f16 v4, v35, v6, -v7
	v_mul_f16_e32 v11, v37, v13
	v_fmac_f16_e32 v9, v36, v0
	v_cvt_f32_f16_e32 v5, v5
	v_fmac_f16_e32 v10, v35, v1
	v_cvt_f32_f16_e32 v0, v4
	;; [unrolled: 2-line block ×3, first 2 shown]
	v_cvt_f64_f32_e32 v[4:5], v5
	v_mul_f16_e32 v2, v37, v2
	v_cvt_f64_f32_e32 v[6:7], v0
	v_cvt_f32_f16_e32 v11, v11
	v_cvt_f64_f32_e32 v[0:1], v9
	v_cvt_f32_f16_e32 v9, v10
	v_fma_f16 v2, v34, v13, -v2
	ds_load_b32 v34, v41 offset:144
	v_cvt_f64_f32_e32 v[11:12], v11
	v_cvt_f64_f32_e32 v[9:10], v9
	v_cvt_f32_f16_e32 v2, v2
	s_delay_alu instid0(VALU_DEP_1)
	v_cvt_f64_f32_e32 v[13:14], v2
	s_wait_alu 0xfffe
	v_mul_f64_e32 v[4:5], s[8:9], v[4:5]
	v_mul_f64_e32 v[6:7], s[8:9], v[6:7]
	;; [unrolled: 1-line block ×3, first 2 shown]
	v_dual_mov_b32 v0, v16 :: v_dual_mov_b32 v1, v18
	s_delay_alu instid0(VALU_DEP_1)
	v_mad_co_u64_u32 v[21:22], null, s7, v8, v[0:1]
	v_mul_f64_e32 v[8:9], s[8:9], v[9:10]
	s_wait_dscnt 0x0
	v_lshrrev_b32_e32 v22, 16, v34
	v_mad_co_u64_u32 v[0:1], null, s5, v33, v[1:2]
	v_mul_f64_e32 v[10:11], s[8:9], v[11:12]
	s_mul_u64 s[6:7], s[4:5], 48
	s_delay_alu instid0(VALU_DEP_3) | instskip(NEXT) | instid1(VALU_DEP_1)
	v_mul_f16_e32 v33, v32, v22
	v_fmac_f16_e32 v33, v31, v34
	s_delay_alu instid0(VALU_DEP_1)
	v_cvt_f32_f16_e32 v12, v33
	v_bfe_u32 v33, v7, 20, 11
	v_mov_b32_e32 v16, v21
	v_and_or_b32 v6, 0x1ff, v7, v6
	v_and_or_b32 v19, 0x1ff, v20, v19
	v_lshrrev_b32_e32 v21, 8, v7
	v_sub_nc_u32_e32 v40, 0x3f1, v33
	v_add_nc_u32_e32 v33, 0xfffffc10, v33
	v_lshlrev_b64_e32 v[1:2], 2, v[15:16]
	v_cvt_f64_f32_e32 v[15:16], v12
	v_mul_f64_e32 v[12:13], s[8:9], v[13:14]
	v_bfe_u32 v14, v5, 20, 11
	v_bfe_u32 v39, v9, 20, 11
	v_mov_b32_e32 v18, v0
	v_add_co_u32 v0, vcc_lo, s2, v1
	s_wait_alu 0xfffd
	v_add_co_ci_u32_e32 v1, vcc_lo, s3, v2, vcc_lo
	v_and_or_b32 v2, 0x1ff, v5, v4
	v_and_or_b32 v8, 0x1ff, v9, v8
	v_lshrrev_b32_e32 v4, 8, v5
	v_lshrrev_b32_e32 v35, 8, v20
	v_bfe_u32 v36, v20, 20, 11
	v_cmp_ne_u32_e32 vcc_lo, 0, v2
	v_and_or_b32 v10, 0x1ff, v11, v10
	v_sub_nc_u32_e32 v37, 0x3f1, v14
	v_lshrrev_b32_e32 v38, 8, v9
	v_sub_nc_u32_e32 v43, 0x3f1, v36
	s_wait_alu 0xfffd
	v_cndmask_b32_e64 v2, 0, 1, vcc_lo
	v_cmp_ne_u32_e32 vcc_lo, 0, v6
	v_lshrrev_b32_e32 v41, 8, v11
	v_lshrrev_b32_e32 v20, 16, v20
	v_bfe_u32 v42, v11, 20, 11
	v_and_or_b32 v2, 0xffe, v4, v2
	s_wait_alu 0xfffd
	v_cndmask_b32_e64 v6, 0, 1, vcc_lo
	v_cmp_ne_u32_e32 vcc_lo, 0, v19
	v_med3_i32 v4, v37, 0, 13
	v_sub_nc_u32_e32 v37, 0x3f1, v39
	v_add_nc_u32_e32 v39, 0xfffffc10, v39
	v_and_or_b32 v6, 0xffe, v21, v6
	s_wait_alu 0xfffd
	v_cndmask_b32_e64 v19, 0, 1, vcc_lo
	v_cmp_ne_u32_e32 vcc_lo, 0, v8
	v_med3_i32 v21, v40, 0, 13
	v_med3_i32 v37, v37, 0, 13
	v_lshl_or_b32 v45, v33, 12, v6
	v_add_nc_u32_e32 v36, 0xfffffc10, v36
	s_wait_alu 0xfffd
	v_cndmask_b32_e64 v8, 0, 1, vcc_lo
	v_cmp_ne_u32_e32 vcc_lo, 0, v10
	v_and_or_b32 v19, 0xffe, v35, v19
	v_med3_i32 v35, v43, 0, 13
	v_or_b32_e32 v43, 0x1000, v2
	v_and_or_b32 v8, 0xffe, v38, v8
	s_wait_alu 0xfffd
	v_cndmask_b32_e64 v10, 0, 1, vcc_lo
	v_cmp_ne_u32_e32 vcc_lo, 0, v2
	v_lshl_or_b32 v46, v36, 12, v19
	v_add_nc_u32_e32 v14, 0xfffffc10, v14
	v_lshrrev_b32_e32 v47, v4, v43
	v_and_or_b32 v10, 0xffe, v41, v10
	v_or_b32_e32 v41, 0x1000, v19
	v_lshl_or_b32 v49, v39, 12, v8
	v_lshl_or_b32 v44, v14, 12, v2
	s_wait_alu 0xfffd
	v_cndmask_b32_e64 v2, 0, 1, vcc_lo
	v_cmp_ne_u32_e32 vcc_lo, 0, v19
	v_lshlrev_b32_e32 v4, v4, v47
	v_or_b32_e32 v48, 0x1000, v8
	v_or_b32_e32 v38, 0x1000, v6
	v_lshrrev_b32_e32 v51, v35, v41
	s_wait_alu 0xfffd
	v_cndmask_b32_e64 v19, 0, 1, vcc_lo
	v_cmp_ne_u32_e32 vcc_lo, 0, v8
	v_lshrrev_b32_e32 v52, v37, v48
	v_lshrrev_b32_e32 v50, v21, v38
	v_lshl_or_b32 v2, v2, 9, 0x7c00
	v_lshl_or_b32 v19, v19, 9, 0x7c00
	s_wait_alu 0xfffd
	v_cndmask_b32_e64 v8, 0, 1, vcc_lo
	v_cmp_ne_u32_e32 vcc_lo, v4, v43
	v_lshlrev_b32_e32 v21, v21, v50
	v_lshlrev_b32_e32 v37, v37, v52
	v_lshrrev_b32_e32 v5, 16, v5
	v_lshl_or_b32 v8, v8, 9, 0x7c00
	s_wait_alu 0xfffd
	v_cndmask_b32_e64 v4, 0, 1, vcc_lo
	v_sub_nc_u32_e32 v40, 0x3f1, v42
	v_lshrrev_b32_e32 v9, 16, v9
	v_lshrrev_b32_e32 v7, 16, v7
	;; [unrolled: 1-line block ×3, first 2 shown]
	v_or_b32_e32 v4, v47, v4
	v_lshlrev_b32_e32 v35, v35, v51
	v_med3_i32 v40, v40, 0, 13
	s_delay_alu instid0(VALU_DEP_2) | instskip(SKIP_3) | instid1(VALU_DEP_2)
	v_cmp_ne_u32_e32 vcc_lo, v35, v41
	s_wait_alu 0xfffd
	v_cndmask_b32_e64 v35, 0, 1, vcc_lo
	v_cmp_ne_u32_e32 vcc_lo, v21, v38
	v_or_b32_e32 v35, v51, v35
	s_wait_alu 0xfffd
	v_cndmask_b32_e64 v21, 0, 1, vcc_lo
	v_cmp_ne_u32_e32 vcc_lo, v37, v48
	s_delay_alu instid0(VALU_DEP_2) | instskip(SKIP_3) | instid1(VALU_DEP_2)
	v_or_b32_e32 v21, v50, v21
	s_wait_alu 0xfffd
	v_cndmask_b32_e64 v37, 0, 1, vcc_lo
	v_cmp_gt_i32_e32 vcc_lo, 1, v14
	v_or_b32_e32 v37, v52, v37
	s_wait_alu 0xfffd
	v_cndmask_b32_e32 v4, v44, v4, vcc_lo
	v_cmp_gt_i32_e32 vcc_lo, 1, v36
	s_wait_alu 0xfffd
	s_delay_alu instid0(VALU_DEP_2) | instskip(SKIP_2) | instid1(VALU_DEP_3)
	v_dual_cndmask_b32 v35, v46, v35 :: v_dual_and_b32 v38, 7, v4
	v_cmp_gt_i32_e32 vcc_lo, 1, v33
	v_lshrrev_b32_e32 v4, 2, v4
	v_cmp_lt_i32_e64 s1, 5, v38
	s_delay_alu instid0(VALU_DEP_4)
	v_and_b32_e32 v41, 7, v35
	s_wait_alu 0xfffd
	v_cndmask_b32_e32 v21, v45, v21, vcc_lo
	v_cmp_gt_i32_e32 vcc_lo, 1, v39
	v_lshrrev_b32_e32 v35, 2, v35
	v_cmp_eq_u32_e64 s2, 3, v38
	v_cmp_eq_u32_e64 s0, 3, v41
	s_wait_alu 0xfffd
	v_cndmask_b32_e32 v37, v49, v37, vcc_lo
	v_cmp_lt_i32_e32 vcc_lo, 5, v41
	s_delay_alu instid0(VALU_DEP_2)
	v_and_b32_e32 v38, 7, v37
	s_or_b32 vcc_lo, s0, vcc_lo
	v_cmp_gt_i32_e64 s0, 31, v36
	s_wait_alu 0xfffe
	v_add_co_ci_u32_e32 v35, vcc_lo, 0, v35, vcc_lo
	s_or_b32 vcc_lo, s2, s1
	v_cmp_gt_i32_e64 s1, 31, v14
	s_wait_alu 0xfffe
	v_add_co_ci_u32_e32 v4, vcc_lo, 0, v4, vcc_lo
	v_cmp_lt_i32_e32 vcc_lo, 5, v38
	v_cndmask_b32_e64 v35, 0x7c00, v35, s0
	v_cmp_eq_u32_e64 s0, 3, v38
	v_lshrrev_b32_e32 v37, 2, v37
	s_wait_alu 0xf1ff
	v_cndmask_b32_e64 v4, 0x7c00, v4, s1
	v_cmp_eq_u32_e64 s1, 0x40f, v36
	s_or_b32 vcc_lo, s0, vcc_lo
	v_cmp_eq_u32_e64 s0, 0x40f, v39
	s_delay_alu instid0(VALU_DEP_2)
	v_cndmask_b32_e64 v19, v35, v19, s1
	s_wait_alu 0xfffe
	v_add_co_ci_u32_e32 v35, vcc_lo, 0, v37, vcc_lo
	v_cmp_eq_u32_e32 vcc_lo, 0x40f, v14
	v_and_b32_e32 v14, 7, v21
	s_wait_alu 0xfffd
	v_cndmask_b32_e32 v2, v4, v2, vcc_lo
	v_cmp_gt_i32_e32 vcc_lo, 31, v39
	v_and_or_b32 v4, 0x8000, v20, v19
	v_or_b32_e32 v20, 0x1000, v10
	s_delay_alu instid0(VALU_DEP_4)
	v_and_or_b32 v2, 0x8000, v5, v2
	s_wait_alu 0xfffd
	v_cndmask_b32_e32 v19, 0x7c00, v35, vcc_lo
	v_cmp_lt_i32_e32 vcc_lo, 5, v14
	v_and_b32_e32 v4, 0xffff, v4
	s_wait_alu 0xf1ff
	s_delay_alu instid0(VALU_DEP_3)
	v_cndmask_b32_e64 v8, v19, v8, s0
	v_cmp_eq_u32_e64 s0, 3, v14
	v_lshrrev_b32_e32 v14, 2, v21
	v_lshl_or_b32 v2, v2, 16, v4
	v_lshlrev_b64_e32 v[4:5], 2, v[17:18]
	v_and_or_b32 v17, 0x8000, v9, v8
	s_or_b32 vcc_lo, s0, vcc_lo
	v_lshrrev_b32_e32 v18, v40, v20
	s_wait_alu 0xfffe
	v_add_co_ci_u32_e32 v8, vcc_lo, 0, v14, vcc_lo
	v_cmp_ne_u32_e32 vcc_lo, 0, v6
	v_mul_f16_e32 v9, v32, v34
	v_lshlrev_b32_e32 v14, v40, v18
	s_wait_alu 0xfffd
	v_cndmask_b32_e64 v6, 0, 1, vcc_lo
	v_cmp_gt_i32_e32 vcc_lo, 31, v33
	s_delay_alu instid0(VALU_DEP_2)
	v_lshl_or_b32 v6, v6, 9, 0x7c00
	s_wait_alu 0xfffd
	v_cndmask_b32_e32 v19, 0x7c00, v8, vcc_lo
	v_fma_f16 v8, v31, v22, -v9
	v_and_or_b32 v9, 0x1ff, v13, v12
	v_cmp_ne_u32_e32 vcc_lo, v14, v20
	v_add_nc_u32_e32 v20, 0xfffffc10, v42
	v_lshrrev_b32_e32 v22, 8, v13
	v_bfe_u32 v31, v13, 20, 11
	v_cvt_f32_f16_e32 v14, v8
	s_wait_alu 0xfffd
	v_cndmask_b32_e64 v12, 0, 1, vcc_lo
	v_cmp_ne_u32_e32 vcc_lo, 0, v9
	v_mul_f64_e32 v[8:9], s[8:9], v[15:16]
	v_lshl_or_b32 v16, v20, 12, v10
	v_cvt_f64_f32_e32 v[14:15], v14
	v_or_b32_e32 v12, v18, v12
	s_wait_alu 0xfffd
	v_cndmask_b32_e64 v21, 0, 1, vcc_lo
	v_cmp_eq_u32_e32 vcc_lo, 0x40f, v33
	s_delay_alu instid0(VALU_DEP_2) | instskip(SKIP_4) | instid1(VALU_DEP_3)
	v_and_or_b32 v18, 0xffe, v22, v21
	s_wait_alu 0xfffd
	v_cndmask_b32_e32 v6, v19, v6, vcc_lo
	v_sub_nc_u32_e32 v19, 0x3f1, v31
	v_cmp_gt_i32_e32 vcc_lo, 1, v20
	v_and_or_b32 v6, 0x8000, v7, v6
	s_delay_alu instid0(VALU_DEP_3)
	v_med3_i32 v19, v19, 0, 13
	s_wait_alu 0xfffd
	v_cndmask_b32_e32 v12, v16, v12, vcc_lo
	v_or_b32_e32 v16, 0x1000, v18
	v_add_co_u32 v4, vcc_lo, v0, v4
	s_wait_alu 0xfffd
	v_add_co_ci_u32_e32 v5, vcc_lo, v1, v5, vcc_lo
	s_delay_alu instid0(VALU_DEP_3)
	v_lshrrev_b32_e32 v7, v19, v16
	v_and_b32_e32 v21, 7, v12
	global_store_b32 v[4:5], v2, off
	v_lshlrev_b32_e32 v2, v19, v7
	v_cmp_lt_i32_e32 vcc_lo, 5, v21
	v_cmp_eq_u32_e64 s0, 3, v21
	s_delay_alu instid0(VALU_DEP_3) | instskip(SKIP_1) | instid1(VALU_DEP_3)
	v_cmp_ne_u32_e64 s1, v2, v16
	v_add_nc_u32_e32 v16, 0xfffffc10, v31
	s_or_b32 vcc_lo, s0, vcc_lo
	s_delay_alu instid0(VALU_DEP_2) | instskip(NEXT) | instid1(VALU_DEP_2)
	v_cndmask_b32_e64 v2, 0, 1, s1
	v_lshl_or_b32 v22, v16, 12, v18
	v_and_or_b32 v8, 0x1ff, v9, v8
	v_cmp_eq_u32_e64 s1, 0x40f, v20
	s_delay_alu instid0(VALU_DEP_4) | instskip(SKIP_1) | instid1(VALU_DEP_1)
	v_or_b32_e32 v2, v7, v2
	v_and_b32_e32 v17, 0xffff, v17
	v_lshl_or_b32 v17, v6, 16, v17
	v_lshrrev_b32_e32 v6, 2, v12
	v_lshrrev_b32_e32 v12, 16, v3
	s_wait_alu 0xfffe
	s_delay_alu instid0(VALU_DEP_2) | instskip(NEXT) | instid1(VALU_DEP_2)
	v_add_co_ci_u32_e32 v19, vcc_lo, 0, v6, vcc_lo
	v_mul_f16_e32 v21, v30, v12
	v_cmp_gt_i32_e32 vcc_lo, 1, v16
	v_mul_f64_e32 v[6:7], s[8:9], v[14:15]
	s_delay_alu instid0(VALU_DEP_3)
	v_fmac_f16_e32 v21, v29, v3
	s_wait_alu 0xfffd
	v_cndmask_b32_e32 v2, v22, v2, vcc_lo
	v_cmp_ne_u32_e32 vcc_lo, 0, v8
	v_lshrrev_b32_e32 v22, 8, v9
	v_mul_f16_e32 v3, v30, v3
	v_cvt_f32_f16_e32 v14, v21
	v_bfe_u32 v21, v9, 20, 11
	s_wait_alu 0xfffd
	v_cndmask_b32_e64 v8, 0, 1, vcc_lo
	v_cmp_ne_u32_e32 vcc_lo, 0, v10
	v_and_b32_e32 v31, 7, v2
	v_cvt_f64_f32_e32 v[14:15], v14
	v_lshrrev_b32_e32 v2, 2, v2
	v_and_or_b32 v8, 0xffe, v22, v8
	s_wait_alu 0xfffd
	v_cndmask_b32_e64 v10, 0, 1, vcc_lo
	v_sub_nc_u32_e32 v22, 0x3f1, v21
	v_cmp_gt_i32_e32 vcc_lo, 31, v20
	v_cmp_eq_u32_e64 s0, 3, v31
	v_or_b32_e32 v32, 0x1000, v8
	v_lshl_or_b32 v10, v10, 9, 0x7c00
	v_med3_i32 v22, v22, 0, 13
	s_wait_alu 0xfffd
	v_cndmask_b32_e32 v19, 0x7c00, v19, vcc_lo
	v_cmp_lt_i32_e32 vcc_lo, 5, v31
	v_lshrrev_b32_e32 v9, 16, v9
	s_wait_alu 0xf1ff
	s_delay_alu instid0(VALU_DEP_3)
	v_cndmask_b32_e64 v10, v19, v10, s1
	v_lshrrev_b32_e32 v19, v22, v32
	s_or_b32 vcc_lo, s0, vcc_lo
	s_wait_alu 0xfffe
	v_add_co_ci_u32_e32 v2, vcc_lo, 0, v2, vcc_lo
	v_cmp_gt_i32_e32 vcc_lo, 31, v16
	v_lshlrev_b32_e32 v20, v22, v19
	v_and_or_b32 v22, 0x8000, v11, v10
	v_and_or_b32 v6, 0x1ff, v7, v6
	s_wait_alu 0xfffd
	v_cndmask_b32_e32 v31, 0x7c00, v2, vcc_lo
	v_cmp_ne_u32_e32 vcc_lo, v20, v32
	v_lshrrev_b32_e32 v10, 8, v7
	v_add_nc_u32_e32 v20, 0xfffffc10, v21
	v_bfe_u32 v21, v7, 20, 11
	v_and_b32_e32 v22, 0xffff, v22
	s_wait_alu 0xfffd
	v_cndmask_b32_e64 v2, 0, 1, vcc_lo
	v_cmp_ne_u32_e32 vcc_lo, 0, v18
	s_delay_alu instid0(VALU_DEP_2)
	v_or_b32_e32 v19, v19, v2
	s_wait_alu 0xfffd
	v_cndmask_b32_e64 v18, 0, 1, vcc_lo
	v_fma_f16 v2, v29, v12, -v3
	v_cmp_ne_u32_e32 vcc_lo, 0, v6
	v_lshl_or_b32 v12, v20, 12, v8
	s_delay_alu instid0(VALU_DEP_3)
	v_cvt_f32_f16_e32 v11, v2
	s_wait_alu 0xfffd
	v_cndmask_b32_e64 v6, 0, 1, vcc_lo
	v_mul_f64_e32 v[2:3], s[8:9], v[14:15]
	v_sub_nc_u32_e32 v14, 0x3f1, v21
	v_cmp_gt_i32_e32 vcc_lo, 1, v20
	v_lshl_or_b32 v15, v18, 9, 0x7c00
	v_and_or_b32 v6, 0xffe, v10, v6
	v_cvt_f64_f32_e32 v[10:11], v11
	v_med3_i32 v14, v14, 0, 13
	s_wait_alu 0xfffd
	v_cndmask_b32_e32 v18, v12, v19, vcc_lo
	v_cmp_eq_u32_e32 vcc_lo, 0x40f, v16
	v_or_b32_e32 v19, 0x1000, v6
	v_lshrrev_b32_e32 v16, 16, v13
	ds_load_2addr_b32 v[12:13], v28 offset0:60 offset1:72
	v_and_b32_e32 v29, 7, v18
	s_wait_alu 0xfffd
	v_cndmask_b32_e32 v15, v31, v15, vcc_lo
	v_lshrrev_b32_e32 v28, v14, v19
	v_add_co_u32 v4, vcc_lo, v4, s6
	s_wait_alu 0xfffd
	v_add_co_ci_u32_e32 v5, vcc_lo, s7, v5, vcc_lo
	s_delay_alu instid0(VALU_DEP_3)
	v_lshlrev_b32_e32 v14, v14, v28
	v_cmp_lt_i32_e32 vcc_lo, 5, v29
	v_cmp_eq_u32_e64 s0, 3, v29
	v_and_or_b32 v16, 0x8000, v16, v15
	v_lshrrev_b32_e32 v15, 2, v18
	v_cmp_ne_u32_e64 s1, v14, v19
	v_add_nc_u32_e32 v18, 0xfffffc10, v21
	s_or_b32 vcc_lo, s0, vcc_lo
	v_lshl_or_b32 v16, v16, 16, v22
	s_wait_alu 0xfffe
	v_add_co_ci_u32_e32 v15, vcc_lo, 0, v15, vcc_lo
	v_cndmask_b32_e64 v14, 0, 1, s1
	v_cmp_ne_u32_e32 vcc_lo, 0, v8
	v_lshl_or_b32 v19, v18, 12, v6
	s_wait_dscnt 0x0
	v_lshrrev_b32_e32 v21, 16, v12
	v_cmp_eq_u32_e64 s1, 0x40f, v20
	v_or_b32_e32 v14, v28, v14
	s_wait_alu 0xfffd
	v_cndmask_b32_e64 v8, 0, 1, vcc_lo
	v_cmp_gt_i32_e32 vcc_lo, 1, v18
	v_and_or_b32 v2, 0x1ff, v3, v2
	v_lshrrev_b32_e32 v29, 8, v3
	v_bfe_u32 v30, v3, 20, 11
	v_lshl_or_b32 v8, v8, 9, 0x7c00
	s_wait_alu 0xfffd
	v_cndmask_b32_e32 v19, v19, v14, vcc_lo
	v_mul_f16_e32 v14, v27, v21
	v_mul_f64_e32 v[10:11], s[8:9], v[10:11]
	v_cmp_gt_i32_e32 vcc_lo, 31, v20
	s_delay_alu instid0(VALU_DEP_3)
	v_fmac_f16_e32 v14, v26, v12
	s_wait_alu 0xfffd
	v_cndmask_b32_e32 v28, 0x7c00, v15, vcc_lo
	v_cmp_ne_u32_e32 vcc_lo, 0, v2
	v_and_b32_e32 v15, 7, v19
	v_cvt_f32_f16_e32 v14, v14
	v_lshrrev_b32_e32 v19, 2, v19
	s_wait_alu 0xf1ff
	v_cndmask_b32_e64 v8, v28, v8, s1
	s_wait_alu 0xfffd
	v_cndmask_b32_e64 v2, 0, 1, vcc_lo
	v_cmp_lt_i32_e32 vcc_lo, 5, v15
	v_cmp_eq_u32_e64 s0, 3, v15
	v_cvt_f64_f32_e32 v[14:15], v14
	v_and_or_b32 v22, 0x8000, v9, v8
	v_and_or_b32 v2, 0xffe, v29, v2
	v_sub_nc_u32_e32 v29, 0x3f1, v30
	s_or_b32 vcc_lo, s0, vcc_lo
	s_wait_alu 0xfffe
	v_add_co_ci_u32_e32 v19, vcc_lo, 0, v19, vcc_lo
	v_or_b32_e32 v20, 0x1000, v2
	v_med3_i32 v28, v29, 0, 13
	v_cmp_ne_u32_e32 vcc_lo, 0, v6
	v_and_b32_e32 v22, 0xffff, v22
	s_delay_alu instid0(VALU_DEP_3) | instskip(SKIP_3) | instid1(VALU_DEP_3)
	v_lshrrev_b32_e32 v29, v28, v20
	s_wait_alu 0xfffd
	v_cndmask_b32_e64 v6, 0, 1, vcc_lo
	v_cmp_gt_i32_e32 vcc_lo, 31, v18
	v_lshlrev_b32_e32 v8, v28, v29
	s_delay_alu instid0(VALU_DEP_3)
	v_lshl_or_b32 v6, v6, 9, 0x7c00
	s_wait_alu 0xfffd
	v_cndmask_b32_e32 v19, 0x7c00, v19, vcc_lo
	v_cmp_eq_u32_e32 vcc_lo, 0x40f, v18
	v_lshrrev_b32_e32 v9, 8, v11
	s_wait_alu 0xfffd
	s_delay_alu instid0(VALU_DEP_3)
	v_cndmask_b32_e32 v18, v19, v6, vcc_lo
	v_lshrrev_b32_e32 v19, 16, v7
	v_and_or_b32 v7, 0x1ff, v11, v10
	v_cmp_ne_u32_e32 vcc_lo, v8, v20
	v_mul_f16_e32 v6, v27, v12
	v_add_nc_u32_e32 v10, 0xfffffc10, v30
	v_bfe_u32 v12, v11, 20, 11
	v_and_or_b32 v18, 0x8000, v19, v18
	s_wait_alu 0xfffd
	v_cndmask_b32_e64 v8, 0, 1, vcc_lo
	v_cmp_ne_u32_e32 vcc_lo, 0, v7
	v_fma_f16 v6, v26, v21, -v6
	v_lshl_or_b32 v21, v10, 12, v2
	v_sub_nc_u32_e32 v27, 0x3f1, v12
	v_or_b32_e32 v20, v29, v8
	s_wait_alu 0xfffd
	v_cndmask_b32_e64 v7, 0, 1, vcc_lo
	v_cvt_f32_f16_e32 v8, v6
	v_cmp_gt_i32_e32 vcc_lo, 1, v10
	v_med3_i32 v27, v27, 0, 13
	s_delay_alu instid0(VALU_DEP_4)
	v_and_or_b32 v26, 0xffe, v9, v7
	v_mul_f64_e32 v[6:7], s[8:9], v[14:15]
	v_cvt_f64_f32_e32 v[8:9], v8
	s_wait_alu 0xfffd
	v_cndmask_b32_e32 v20, v21, v20, vcc_lo
	v_add_co_u32 v14, vcc_lo, v4, s6
	v_or_b32_e32 v21, 0x1000, v26
	s_wait_alu 0xfffd
	v_add_co_ci_u32_e32 v15, vcc_lo, s7, v5, vcc_lo
	v_and_b32_e32 v28, 7, v20
	s_clause 0x1
	global_store_b32 v[4:5], v17, off
	global_store_b32 v[14:15], v16, off
	v_lshrrev_b32_e32 v19, v27, v21
	v_lshrrev_b32_e32 v5, 2, v20
	v_cmp_lt_i32_e32 vcc_lo, 5, v28
	v_cmp_eq_u32_e64 s0, 3, v28
	v_add_nc_u32_e32 v17, 0xfffffc10, v12
	v_lshlrev_b32_e32 v4, v27, v19
	v_lshrrev_b32_e32 v12, 16, v13
	v_lshl_or_b32 v16, v18, 16, v22
	s_or_b32 vcc_lo, s0, vcc_lo
	v_lshl_or_b32 v18, v17, 12, v26
	v_cmp_ne_u32_e64 s1, v4, v21
	s_wait_alu 0xfffe
	v_add_co_ci_u32_e32 v5, vcc_lo, 0, v5, vcc_lo
	v_cmp_gt_i32_e32 vcc_lo, 31, v10
	s_wait_alu 0xf1ff
	v_cndmask_b32_e64 v4, 0, 1, s1
	v_cmp_eq_u32_e64 s1, 0x40f, v10
	s_wait_alu 0xfffd
	v_cndmask_b32_e32 v20, 0x7c00, v5, vcc_lo
	v_cmp_gt_i32_e32 vcc_lo, 1, v17
	v_or_b32_e32 v4, v19, v4
	v_mul_f16_e32 v19, v25, v12
	s_wait_alu 0xfffd
	s_delay_alu instid0(VALU_DEP_2) | instskip(NEXT) | instid1(VALU_DEP_2)
	v_cndmask_b32_e32 v18, v18, v4, vcc_lo
	v_fmac_f16_e32 v19, v24, v13
	v_cmp_ne_u32_e32 vcc_lo, 0, v2
	v_and_or_b32 v6, 0x1ff, v7, v6
	v_mul_f64_e32 v[4:5], s[8:9], v[8:9]
	v_mul_f16_e32 v13, v25, v13
	v_cvt_f32_f16_e32 v8, v19
	s_wait_alu 0xfffd
	v_cndmask_b32_e64 v2, 0, 1, vcc_lo
	v_cmp_ne_u32_e32 vcc_lo, 0, v6
	v_bfe_u32 v22, v7, 20, 11
	v_fma_f16 v12, v24, v12, -v13
	v_cvt_f64_f32_e32 v[8:9], v8
	v_lshrrev_b32_e32 v19, 8, v7
	s_wait_alu 0xfffd
	v_cndmask_b32_e64 v6, 0, 1, vcc_lo
	v_and_b32_e32 v21, 7, v18
	v_sub_nc_u32_e32 v13, 0x3f1, v22
	v_cvt_f32_f16_e32 v12, v12
	v_lshl_or_b32 v2, v2, 9, 0x7c00
	v_and_or_b32 v6, 0xffe, v19, v6
	v_cmp_lt_i32_e32 vcc_lo, 5, v21
	v_cmp_eq_u32_e64 s0, 3, v21
	v_lshrrev_b32_e32 v18, 2, v18
	v_med3_i32 v21, v13, 0, 13
	v_cvt_f64_f32_e32 v[12:13], v12
	v_or_b32_e32 v19, 0x1000, v6
	s_or_b32 vcc_lo, s0, vcc_lo
	v_cndmask_b32_e64 v10, v20, v2, s1
	s_wait_alu 0xfffe
	v_add_co_ci_u32_e32 v2, vcc_lo, 0, v18, vcc_lo
	v_lshrrev_b32_e32 v18, v21, v19
	v_cmp_ne_u32_e32 vcc_lo, 0, v26
	v_lshrrev_b32_e32 v24, 16, v3
	v_lshrrev_b32_e32 v7, 16, v7
	s_delay_alu instid0(VALU_DEP_4) | instskip(SKIP_4) | instid1(VALU_DEP_3)
	v_lshlrev_b32_e32 v21, v21, v18
	s_wait_alu 0xfffd
	v_cndmask_b32_e64 v20, 0, 1, vcc_lo
	v_cmp_gt_i32_e32 vcc_lo, 31, v17
	v_and_or_b32 v24, 0x8000, v24, v10
	v_lshl_or_b32 v20, v20, 9, 0x7c00
	s_wait_alu 0xfffd
	v_cndmask_b32_e32 v25, 0x7c00, v2, vcc_lo
	v_cmp_ne_u32_e32 vcc_lo, v21, v19
	v_and_or_b32 v4, 0x1ff, v5, v4
	v_mad_co_u64_u32 v[2:3], null, s4, v23, 0
	v_lshrrev_b32_e32 v19, 16, v11
	s_wait_alu 0xfffd
	v_cndmask_b32_e64 v10, 0, 1, vcc_lo
	v_cmp_eq_u32_e32 vcc_lo, 0x40f, v17
	v_mul_f64_e32 v[8:9], s[8:9], v[8:9]
	v_bfe_u32 v21, v5, 20, 11
	s_delay_alu instid0(VALU_DEP_4)
	v_or_b32_e32 v10, v18, v10
	s_wait_alu 0xfffd
	v_cndmask_b32_e32 v17, v25, v20, vcc_lo
	v_cmp_ne_u32_e32 vcc_lo, 0, v4
	v_add_nc_u32_e32 v18, 0xfffffc10, v22
	v_lshrrev_b32_e32 v20, 8, v5
	v_mad_co_u64_u32 v[3:4], null, s5, v23, v[3:4]
	s_wait_alu 0xfffd
	v_cndmask_b32_e64 v11, 0, 1, vcc_lo
	v_lshl_or_b32 v22, v18, 12, v6
	v_cmp_gt_i32_e32 vcc_lo, 1, v18
	v_lshrrev_b32_e32 v5, 16, v5
	s_delay_alu instid0(VALU_DEP_4)
	v_and_or_b32 v4, 0xffe, v20, v11
	v_sub_nc_u32_e32 v20, 0x3f1, v21
	s_wait_alu 0xfffd
	v_cndmask_b32_e32 v22, v22, v10, vcc_lo
	v_mul_f64_e32 v[10:11], s[8:9], v[12:13]
	v_add_co_u32 v12, vcc_lo, v14, s6
	v_or_b32_e32 v23, 0x1000, v4
	v_med3_i32 v20, v20, 0, 13
	v_and_or_b32 v14, 0x8000, v19, v17
	v_and_b32_e32 v19, 7, v22
	v_and_b32_e32 v17, 0xffff, v24
	s_wait_alu 0xfffd
	v_add_co_ci_u32_e32 v13, vcc_lo, s7, v15, vcc_lo
	v_lshrrev_b32_e32 v15, v20, v23
	v_cmp_lt_i32_e32 vcc_lo, 5, v19
	v_cmp_eq_u32_e64 s0, 3, v19
	v_lshl_or_b32 v14, v14, 16, v17
	v_lshrrev_b32_e32 v17, 2, v22
	v_lshlrev_b32_e32 v20, v20, v15
	v_lshlrev_b64_e32 v[2:3], 2, v[2:3]
	s_or_b32 vcc_lo, s0, vcc_lo
	s_wait_alu 0xfffe
	v_add_co_ci_u32_e32 v17, vcc_lo, 0, v17, vcc_lo
	v_cmp_ne_u32_e64 s1, v20, v23
	v_cmp_ne_u32_e32 vcc_lo, 0, v6
	v_add_nc_u32_e32 v20, 0xfffffc10, v21
	v_and_or_b32 v8, 0x1ff, v9, v8
	v_bfe_u32 v21, v9, 20, 11
	s_wait_alu 0xf1ff
	v_cndmask_b32_e64 v19, 0, 1, s1
	s_wait_alu 0xfffd
	v_cndmask_b32_e64 v6, 0, 1, vcc_lo
	v_cmp_gt_i32_e32 vcc_lo, 31, v18
	s_delay_alu instid0(VALU_DEP_3)
	v_or_b32_e32 v15, v15, v19
	v_lshl_or_b32 v19, v20, 12, v4
	s_wait_alu 0xfffd
	v_cndmask_b32_e32 v17, 0x7c00, v17, vcc_lo
	v_cmp_gt_i32_e32 vcc_lo, 1, v20
	v_lshl_or_b32 v6, v6, 9, 0x7c00
	v_and_or_b32 v10, 0x1ff, v11, v10
	s_wait_alu 0xfffd
	v_cndmask_b32_e32 v15, v19, v15, vcc_lo
	v_cmp_ne_u32_e32 vcc_lo, 0, v8
	v_lshrrev_b32_e32 v19, 8, v9
	v_bfe_u32 v22, v11, 20, 11
	v_lshrrev_b32_e32 v9, 16, v9
	s_wait_alu 0xfffd
	v_cndmask_b32_e64 v8, 0, 1, vcc_lo
	v_cmp_eq_u32_e32 vcc_lo, 0x40f, v18
	v_sub_nc_u32_e32 v18, 0x3f1, v21
	v_add_nc_u32_e32 v21, 0xfffffc10, v21
	s_delay_alu instid0(VALU_DEP_4)
	v_and_or_b32 v8, 0xffe, v19, v8
	s_wait_alu 0xfffd
	v_dual_cndmask_b32 v6, v17, v6 :: v_dual_and_b32 v17, 7, v15
	v_cmp_ne_u32_e32 vcc_lo, 0, v10
	v_lshrrev_b32_e32 v19, 8, v11
	v_or_b32_e32 v23, 0x1000, v8
	v_med3_i32 v18, v18, 0, 13
	v_cmp_eq_u32_e64 s0, 3, v17
	s_wait_alu 0xfffd
	v_cndmask_b32_e64 v10, 0, 1, vcc_lo
	v_cmp_lt_i32_e32 vcc_lo, 5, v17
	v_lshrrev_b32_e32 v15, 2, v15
	v_lshrrev_b32_e32 v17, v18, v23
	v_and_or_b32 v6, 0x8000, v7, v6
	v_and_or_b32 v10, 0xffe, v19, v10
	v_sub_nc_u32_e32 v19, 0x3f1, v22
	s_or_b32 vcc_lo, s0, vcc_lo
	v_lshlrev_b32_e32 v18, v18, v17
	s_wait_alu 0xfffe
	v_add_co_ci_u32_e32 v15, vcc_lo, 0, v15, vcc_lo
	v_or_b32_e32 v24, 0x1000, v10
	v_med3_i32 v19, v19, 0, 13
	v_cmp_gt_i32_e32 vcc_lo, 31, v20
	v_add_nc_u32_e32 v22, 0xfffffc10, v22
	v_lshrrev_b32_e32 v11, 16, v11
	s_delay_alu instid0(VALU_DEP_4) | instskip(SKIP_3) | instid1(VALU_DEP_3)
	v_lshrrev_b32_e32 v25, v19, v24
	s_wait_alu 0xfffd
	v_cndmask_b32_e32 v15, 0x7c00, v15, vcc_lo
	v_cmp_ne_u32_e32 vcc_lo, v18, v23
	v_lshlrev_b32_e32 v19, v19, v25
	s_wait_alu 0xfffd
	v_cndmask_b32_e64 v18, 0, 1, vcc_lo
	v_cmp_ne_u32_e32 vcc_lo, 0, v4
	s_delay_alu instid0(VALU_DEP_2) | instskip(SKIP_4) | instid1(VALU_DEP_3)
	v_or_b32_e32 v17, v17, v18
	s_wait_alu 0xfffd
	v_cndmask_b32_e64 v4, 0, 1, vcc_lo
	v_cmp_ne_u32_e32 vcc_lo, v19, v24
	v_lshl_or_b32 v18, v21, 12, v8
	v_lshl_or_b32 v4, v4, 9, 0x7c00
	s_wait_alu 0xfffd
	v_cndmask_b32_e64 v19, 0, 1, vcc_lo
	v_cmp_gt_i32_e32 vcc_lo, 1, v21
	s_wait_alu 0xfffd
	v_cndmask_b32_e32 v17, v18, v17, vcc_lo
	v_cmp_eq_u32_e32 vcc_lo, 0x40f, v20
	v_or_b32_e32 v18, v25, v19
	v_lshl_or_b32 v19, v22, 12, v10
	s_wait_alu 0xfffd
	v_cndmask_b32_e32 v4, v15, v4, vcc_lo
	v_cmp_gt_i32_e32 vcc_lo, 1, v22
	v_and_b32_e32 v15, 7, v17
	s_delay_alu instid0(VALU_DEP_3) | instskip(SKIP_2) | instid1(VALU_DEP_3)
	v_and_or_b32 v7, 0x8000, v5, v4
	s_wait_alu 0xfffd
	v_cndmask_b32_e32 v18, v19, v18, vcc_lo
	v_cmp_lt_i32_e32 vcc_lo, 5, v15
	v_cmp_eq_u32_e64 s0, 3, v15
	v_lshrrev_b32_e32 v15, 2, v17
	v_mad_co_u64_u32 v[4:5], null, 0x60, s4, v[12:13]
	v_and_b32_e32 v19, 7, v18
	s_delay_alu instid0(VALU_DEP_4)
	s_or_b32 vcc_lo, s0, vcc_lo
	v_lshrrev_b32_e32 v17, 2, v18
	s_wait_alu 0xfffe
	v_add_co_ci_u32_e32 v15, vcc_lo, 0, v15, vcc_lo
	v_cmp_lt_i32_e64 s1, 5, v19
	v_cmp_eq_u32_e64 s2, 3, v19
	v_cmp_ne_u32_e32 vcc_lo, 0, v8
	s_wait_alu 0xfffd
	v_cndmask_b32_e64 v8, 0, 1, vcc_lo
	s_delay_alu instid0(VALU_DEP_3)
	s_or_b32 vcc_lo, s2, s1
	s_wait_alu 0xfffe
	v_add_co_ci_u32_e32 v17, vcc_lo, 0, v17, vcc_lo
	v_cmp_ne_u32_e32 vcc_lo, 0, v10
	v_lshl_or_b32 v8, v8, 9, 0x7c00
	s_wait_alu 0xfffd
	v_cndmask_b32_e64 v10, 0, 1, vcc_lo
	v_cmp_gt_i32_e32 vcc_lo, 31, v21
	s_delay_alu instid0(VALU_DEP_2)
	v_lshl_or_b32 v10, v10, 9, 0x7c00
	s_wait_alu 0xfffd
	v_cndmask_b32_e32 v15, 0x7c00, v15, vcc_lo
	v_cmp_gt_i32_e32 vcc_lo, 31, v22
	s_wait_alu 0xfffd
	v_cndmask_b32_e32 v17, 0x7c00, v17, vcc_lo
	v_cmp_eq_u32_e32 vcc_lo, 0x40f, v21
	s_wait_alu 0xfffd
	v_cndmask_b32_e32 v8, v15, v8, vcc_lo
	v_cmp_eq_u32_e32 vcc_lo, 0x40f, v22
	s_delay_alu instid0(VALU_DEP_2)
	v_and_or_b32 v8, 0x8000, v9, v8
	s_wait_alu 0xfffd
	v_cndmask_b32_e32 v10, v17, v10, vcc_lo
	v_and_b32_e32 v9, 0xffff, v6
	v_mad_co_u64_u32 v[5:6], null, 0x60, s5, v[5:6]
	v_and_b32_e32 v8, 0xffff, v8
	s_delay_alu instid0(VALU_DEP_4)
	v_and_or_b32 v6, 0x8000, v11, v10
	v_add_co_u32 v0, vcc_lo, v0, v2
	s_wait_alu 0xfffd
	v_add_co_ci_u32_e32 v1, vcc_lo, v1, v3, vcc_lo
	v_add_co_u32 v2, vcc_lo, v4, s6
	v_lshl_or_b32 v7, v7, 16, v9
	v_lshl_or_b32 v6, v6, 16, v8
	s_wait_alu 0xfffd
	v_add_co_ci_u32_e32 v3, vcc_lo, s7, v5, vcc_lo
	s_clause 0x2
	global_store_b32 v[12:13], v16, off
	global_store_b32 v[0:1], v14, off
	;; [unrolled: 1-line block ×4, first 2 shown]
.LBB0_18:
	s_nop 0
	s_sendmsg sendmsg(MSG_DEALLOC_VGPRS)
	s_endpgm
	.section	.rodata,"a",@progbits
	.p2align	6, 0x0
	.amdhsa_kernel bluestein_single_fwd_len84_dim1_half_op_CI_CI
		.amdhsa_group_segment_fixed_size 3360
		.amdhsa_private_segment_fixed_size 0
		.amdhsa_kernarg_size 104
		.amdhsa_user_sgpr_count 2
		.amdhsa_user_sgpr_dispatch_ptr 0
		.amdhsa_user_sgpr_queue_ptr 0
		.amdhsa_user_sgpr_kernarg_segment_ptr 1
		.amdhsa_user_sgpr_dispatch_id 0
		.amdhsa_user_sgpr_private_segment_size 0
		.amdhsa_wavefront_size32 1
		.amdhsa_uses_dynamic_stack 0
		.amdhsa_enable_private_segment 0
		.amdhsa_system_sgpr_workgroup_id_x 1
		.amdhsa_system_sgpr_workgroup_id_y 0
		.amdhsa_system_sgpr_workgroup_id_z 0
		.amdhsa_system_sgpr_workgroup_info 0
		.amdhsa_system_vgpr_workitem_id 0
		.amdhsa_next_free_vgpr 97
		.amdhsa_next_free_sgpr 20
		.amdhsa_reserve_vcc 1
		.amdhsa_float_round_mode_32 0
		.amdhsa_float_round_mode_16_64 0
		.amdhsa_float_denorm_mode_32 3
		.amdhsa_float_denorm_mode_16_64 3
		.amdhsa_fp16_overflow 0
		.amdhsa_workgroup_processor_mode 1
		.amdhsa_memory_ordered 1
		.amdhsa_forward_progress 0
		.amdhsa_round_robin_scheduling 0
		.amdhsa_exception_fp_ieee_invalid_op 0
		.amdhsa_exception_fp_denorm_src 0
		.amdhsa_exception_fp_ieee_div_zero 0
		.amdhsa_exception_fp_ieee_overflow 0
		.amdhsa_exception_fp_ieee_underflow 0
		.amdhsa_exception_fp_ieee_inexact 0
		.amdhsa_exception_int_div_zero 0
	.end_amdhsa_kernel
	.text
.Lfunc_end0:
	.size	bluestein_single_fwd_len84_dim1_half_op_CI_CI, .Lfunc_end0-bluestein_single_fwd_len84_dim1_half_op_CI_CI
                                        ; -- End function
	.section	.AMDGPU.csdata,"",@progbits
; Kernel info:
; codeLenInByte = 10960
; NumSgprs: 22
; NumVgprs: 97
; ScratchSize: 0
; MemoryBound: 0
; FloatMode: 240
; IeeeMode: 1
; LDSByteSize: 3360 bytes/workgroup (compile time only)
; SGPRBlocks: 2
; VGPRBlocks: 12
; NumSGPRsForWavesPerEU: 22
; NumVGPRsForWavesPerEU: 97
; Occupancy: 12
; WaveLimiterHint : 1
; COMPUTE_PGM_RSRC2:SCRATCH_EN: 0
; COMPUTE_PGM_RSRC2:USER_SGPR: 2
; COMPUTE_PGM_RSRC2:TRAP_HANDLER: 0
; COMPUTE_PGM_RSRC2:TGID_X_EN: 1
; COMPUTE_PGM_RSRC2:TGID_Y_EN: 0
; COMPUTE_PGM_RSRC2:TGID_Z_EN: 0
; COMPUTE_PGM_RSRC2:TIDIG_COMP_CNT: 0
	.text
	.p2alignl 7, 3214868480
	.fill 96, 4, 3214868480
	.type	__hip_cuid_e984f86269b59532,@object ; @__hip_cuid_e984f86269b59532
	.section	.bss,"aw",@nobits
	.globl	__hip_cuid_e984f86269b59532
__hip_cuid_e984f86269b59532:
	.byte	0                               ; 0x0
	.size	__hip_cuid_e984f86269b59532, 1

	.ident	"AMD clang version 19.0.0git (https://github.com/RadeonOpenCompute/llvm-project roc-6.4.0 25133 c7fe45cf4b819c5991fe208aaa96edf142730f1d)"
	.section	".note.GNU-stack","",@progbits
	.addrsig
	.addrsig_sym __hip_cuid_e984f86269b59532
	.amdgpu_metadata
---
amdhsa.kernels:
  - .args:
      - .actual_access:  read_only
        .address_space:  global
        .offset:         0
        .size:           8
        .value_kind:     global_buffer
      - .actual_access:  read_only
        .address_space:  global
        .offset:         8
        .size:           8
        .value_kind:     global_buffer
      - .actual_access:  read_only
        .address_space:  global
        .offset:         16
        .size:           8
        .value_kind:     global_buffer
      - .actual_access:  read_only
        .address_space:  global
        .offset:         24
        .size:           8
        .value_kind:     global_buffer
      - .actual_access:  read_only
        .address_space:  global
        .offset:         32
        .size:           8
        .value_kind:     global_buffer
      - .offset:         40
        .size:           8
        .value_kind:     by_value
      - .address_space:  global
        .offset:         48
        .size:           8
        .value_kind:     global_buffer
      - .address_space:  global
        .offset:         56
        .size:           8
        .value_kind:     global_buffer
      - .address_space:  global
        .offset:         64
        .size:           8
        .value_kind:     global_buffer
      - .address_space:  global
        .offset:         72
        .size:           8
        .value_kind:     global_buffer
      - .offset:         80
        .size:           4
        .value_kind:     by_value
      - .address_space:  global
        .offset:         88
        .size:           8
        .value_kind:     global_buffer
      - .address_space:  global
        .offset:         96
        .size:           8
        .value_kind:     global_buffer
    .group_segment_fixed_size: 3360
    .kernarg_segment_align: 8
    .kernarg_segment_size: 104
    .language:       OpenCL C
    .language_version:
      - 2
      - 0
    .max_flat_workgroup_size: 120
    .name:           bluestein_single_fwd_len84_dim1_half_op_CI_CI
    .private_segment_fixed_size: 0
    .sgpr_count:     22
    .sgpr_spill_count: 0
    .symbol:         bluestein_single_fwd_len84_dim1_half_op_CI_CI.kd
    .uniform_work_group_size: 1
    .uses_dynamic_stack: false
    .vgpr_count:     97
    .vgpr_spill_count: 0
    .wavefront_size: 32
    .workgroup_processor_mode: 1
amdhsa.target:   amdgcn-amd-amdhsa--gfx1201
amdhsa.version:
  - 1
  - 2
...

	.end_amdgpu_metadata
